;; amdgpu-corpus repo=ROCm/rocFFT kind=compiled arch=gfx906 opt=O3
	.text
	.amdgcn_target "amdgcn-amd-amdhsa--gfx906"
	.amdhsa_code_object_version 6
	.protected	fft_rtc_back_len840_factors_2_2_2_3_5_7_wgs_56_tpt_56_halfLds_half_op_CI_CI_unitstride_sbrr_R2C_dirReg ; -- Begin function fft_rtc_back_len840_factors_2_2_2_3_5_7_wgs_56_tpt_56_halfLds_half_op_CI_CI_unitstride_sbrr_R2C_dirReg
	.globl	fft_rtc_back_len840_factors_2_2_2_3_5_7_wgs_56_tpt_56_halfLds_half_op_CI_CI_unitstride_sbrr_R2C_dirReg
	.p2align	8
	.type	fft_rtc_back_len840_factors_2_2_2_3_5_7_wgs_56_tpt_56_halfLds_half_op_CI_CI_unitstride_sbrr_R2C_dirReg,@function
fft_rtc_back_len840_factors_2_2_2_3_5_7_wgs_56_tpt_56_halfLds_half_op_CI_CI_unitstride_sbrr_R2C_dirReg: ; @fft_rtc_back_len840_factors_2_2_2_3_5_7_wgs_56_tpt_56_halfLds_half_op_CI_CI_unitstride_sbrr_R2C_dirReg
; %bb.0:
	s_load_dwordx4 s[8:11], s[4:5], 0x58
	s_load_dwordx4 s[12:15], s[4:5], 0x0
	;; [unrolled: 1-line block ×3, first 2 shown]
	v_mul_u32_u24_e32 v1, 0x493, v0
	v_mov_b32_e32 v3, 0
	v_mov_b32_e32 v17, 0
	s_waitcnt lgkmcnt(0)
	v_cmp_lt_u64_e64 s[0:1], s[14:15], 2
	v_add_u32_sdwa v7, s6, v1 dst_sel:DWORD dst_unused:UNUSED_PAD src0_sel:DWORD src1_sel:WORD_1
	v_mov_b32_e32 v8, v3
	s_and_b64 vcc, exec, s[0:1]
	v_mov_b32_e32 v18, 0
	s_cbranch_vccnz .LBB0_8
; %bb.1:
	s_load_dwordx2 s[0:1], s[4:5], 0x10
	s_add_u32 s2, s18, 8
	s_addc_u32 s3, s19, 0
	s_add_u32 s6, s16, 8
	s_addc_u32 s7, s17, 0
	v_mov_b32_e32 v17, 0
	s_waitcnt lgkmcnt(0)
	s_add_u32 s20, s0, 8
	v_mov_b32_e32 v18, 0
	v_mov_b32_e32 v1, v17
	s_addc_u32 s21, s1, 0
	s_mov_b64 s[22:23], 1
	v_mov_b32_e32 v2, v18
.LBB0_2:                                ; =>This Inner Loop Header: Depth=1
	s_load_dwordx2 s[24:25], s[20:21], 0x0
                                        ; implicit-def: $vgpr5_vgpr6
	s_waitcnt lgkmcnt(0)
	v_or_b32_e32 v4, s25, v8
	v_cmp_ne_u64_e32 vcc, 0, v[3:4]
	s_and_saveexec_b64 s[0:1], vcc
	s_xor_b64 s[26:27], exec, s[0:1]
	s_cbranch_execz .LBB0_4
; %bb.3:                                ;   in Loop: Header=BB0_2 Depth=1
	v_cvt_f32_u32_e32 v4, s24
	v_cvt_f32_u32_e32 v5, s25
	s_sub_u32 s0, 0, s24
	s_subb_u32 s1, 0, s25
	v_mac_f32_e32 v4, 0x4f800000, v5
	v_rcp_f32_e32 v4, v4
	v_mul_f32_e32 v4, 0x5f7ffffc, v4
	v_mul_f32_e32 v5, 0x2f800000, v4
	v_trunc_f32_e32 v5, v5
	v_mac_f32_e32 v4, 0xcf800000, v5
	v_cvt_u32_f32_e32 v5, v5
	v_cvt_u32_f32_e32 v4, v4
	v_mul_lo_u32 v6, s0, v5
	v_mul_hi_u32 v9, s0, v4
	v_mul_lo_u32 v11, s1, v4
	v_mul_lo_u32 v10, s0, v4
	v_add_u32_e32 v6, v9, v6
	v_add_u32_e32 v6, v6, v11
	v_mul_hi_u32 v9, v4, v10
	v_mul_lo_u32 v11, v4, v6
	v_mul_hi_u32 v13, v4, v6
	v_mul_hi_u32 v12, v5, v10
	v_mul_lo_u32 v10, v5, v10
	v_mul_hi_u32 v14, v5, v6
	v_add_co_u32_e32 v9, vcc, v9, v11
	v_addc_co_u32_e32 v11, vcc, 0, v13, vcc
	v_mul_lo_u32 v6, v5, v6
	v_add_co_u32_e32 v9, vcc, v9, v10
	v_addc_co_u32_e32 v9, vcc, v11, v12, vcc
	v_addc_co_u32_e32 v10, vcc, 0, v14, vcc
	v_add_co_u32_e32 v6, vcc, v9, v6
	v_addc_co_u32_e32 v9, vcc, 0, v10, vcc
	v_add_co_u32_e32 v4, vcc, v4, v6
	v_addc_co_u32_e32 v5, vcc, v5, v9, vcc
	v_mul_lo_u32 v6, s0, v5
	v_mul_hi_u32 v9, s0, v4
	v_mul_lo_u32 v10, s1, v4
	v_mul_lo_u32 v11, s0, v4
	v_add_u32_e32 v6, v9, v6
	v_add_u32_e32 v6, v6, v10
	v_mul_lo_u32 v12, v4, v6
	v_mul_hi_u32 v13, v4, v11
	v_mul_hi_u32 v14, v4, v6
	v_mul_hi_u32 v10, v5, v11
	v_mul_lo_u32 v11, v5, v11
	v_mul_hi_u32 v9, v5, v6
	v_add_co_u32_e32 v12, vcc, v13, v12
	v_addc_co_u32_e32 v13, vcc, 0, v14, vcc
	v_mul_lo_u32 v6, v5, v6
	v_add_co_u32_e32 v11, vcc, v12, v11
	v_addc_co_u32_e32 v10, vcc, v13, v10, vcc
	v_addc_co_u32_e32 v9, vcc, 0, v9, vcc
	v_add_co_u32_e32 v6, vcc, v10, v6
	v_addc_co_u32_e32 v9, vcc, 0, v9, vcc
	v_add_co_u32_e32 v6, vcc, v4, v6
	v_addc_co_u32_e32 v9, vcc, v5, v9, vcc
	v_mad_u64_u32 v[4:5], s[0:1], v7, v9, 0
	v_mul_hi_u32 v10, v7, v6
	v_add_co_u32_e32 v11, vcc, v10, v4
	v_addc_co_u32_e32 v12, vcc, 0, v5, vcc
	v_mad_u64_u32 v[4:5], s[0:1], v8, v6, 0
	v_mad_u64_u32 v[9:10], s[0:1], v8, v9, 0
	v_add_co_u32_e32 v4, vcc, v11, v4
	v_addc_co_u32_e32 v4, vcc, v12, v5, vcc
	v_addc_co_u32_e32 v5, vcc, 0, v10, vcc
	v_add_co_u32_e32 v9, vcc, v4, v9
	v_addc_co_u32_e32 v6, vcc, 0, v5, vcc
	v_mul_lo_u32 v10, s25, v9
	v_mul_lo_u32 v11, s24, v6
	v_mad_u64_u32 v[4:5], s[0:1], s24, v9, 0
	v_add3_u32 v5, v5, v11, v10
	v_sub_u32_e32 v10, v8, v5
	v_mov_b32_e32 v11, s25
	v_sub_co_u32_e32 v4, vcc, v7, v4
	v_subb_co_u32_e64 v10, s[0:1], v10, v11, vcc
	v_subrev_co_u32_e64 v11, s[0:1], s24, v4
	v_subbrev_co_u32_e64 v10, s[0:1], 0, v10, s[0:1]
	v_cmp_le_u32_e64 s[0:1], s25, v10
	v_cndmask_b32_e64 v12, 0, -1, s[0:1]
	v_cmp_le_u32_e64 s[0:1], s24, v11
	v_cndmask_b32_e64 v11, 0, -1, s[0:1]
	v_cmp_eq_u32_e64 s[0:1], s25, v10
	v_cndmask_b32_e64 v10, v12, v11, s[0:1]
	v_add_co_u32_e64 v11, s[0:1], 2, v9
	v_addc_co_u32_e64 v12, s[0:1], 0, v6, s[0:1]
	v_add_co_u32_e64 v13, s[0:1], 1, v9
	v_addc_co_u32_e64 v14, s[0:1], 0, v6, s[0:1]
	v_subb_co_u32_e32 v5, vcc, v8, v5, vcc
	v_cmp_ne_u32_e64 s[0:1], 0, v10
	v_cmp_le_u32_e32 vcc, s25, v5
	v_cndmask_b32_e64 v10, v14, v12, s[0:1]
	v_cndmask_b32_e64 v12, 0, -1, vcc
	v_cmp_le_u32_e32 vcc, s24, v4
	v_cndmask_b32_e64 v4, 0, -1, vcc
	v_cmp_eq_u32_e32 vcc, s25, v5
	v_cndmask_b32_e32 v4, v12, v4, vcc
	v_cmp_ne_u32_e32 vcc, 0, v4
	v_cndmask_b32_e64 v4, v13, v11, s[0:1]
	v_cndmask_b32_e32 v6, v6, v10, vcc
	v_cndmask_b32_e32 v5, v9, v4, vcc
.LBB0_4:                                ;   in Loop: Header=BB0_2 Depth=1
	s_andn2_saveexec_b64 s[0:1], s[26:27]
	s_cbranch_execz .LBB0_6
; %bb.5:                                ;   in Loop: Header=BB0_2 Depth=1
	v_cvt_f32_u32_e32 v4, s24
	s_sub_i32 s26, 0, s24
	v_rcp_iflag_f32_e32 v4, v4
	v_mul_f32_e32 v4, 0x4f7ffffe, v4
	v_cvt_u32_f32_e32 v4, v4
	v_mul_lo_u32 v5, s26, v4
	v_mul_hi_u32 v5, v4, v5
	v_add_u32_e32 v4, v4, v5
	v_mul_hi_u32 v4, v7, v4
	v_mul_lo_u32 v5, v4, s24
	v_add_u32_e32 v6, 1, v4
	v_sub_u32_e32 v5, v7, v5
	v_subrev_u32_e32 v9, s24, v5
	v_cmp_le_u32_e32 vcc, s24, v5
	v_cndmask_b32_e32 v5, v5, v9, vcc
	v_cndmask_b32_e32 v4, v4, v6, vcc
	v_add_u32_e32 v6, 1, v4
	v_cmp_le_u32_e32 vcc, s24, v5
	v_cndmask_b32_e32 v5, v4, v6, vcc
	v_mov_b32_e32 v6, v3
.LBB0_6:                                ;   in Loop: Header=BB0_2 Depth=1
	s_or_b64 exec, exec, s[0:1]
	v_mul_lo_u32 v4, v6, s24
	v_mul_lo_u32 v11, v5, s25
	v_mad_u64_u32 v[9:10], s[0:1], v5, s24, 0
	s_load_dwordx2 s[0:1], s[6:7], 0x0
	s_load_dwordx2 s[24:25], s[2:3], 0x0
	v_add3_u32 v4, v10, v11, v4
	v_sub_co_u32_e32 v7, vcc, v7, v9
	v_subb_co_u32_e32 v4, vcc, v8, v4, vcc
	s_waitcnt lgkmcnt(0)
	v_mul_lo_u32 v8, s0, v4
	v_mul_lo_u32 v9, s1, v7
	v_mad_u64_u32 v[17:18], s[0:1], s0, v7, v[17:18]
	s_add_u32 s22, s22, 1
	s_addc_u32 s23, s23, 0
	s_add_u32 s2, s2, 8
	v_mul_lo_u32 v4, s24, v4
	v_mul_lo_u32 v10, s25, v7
	v_mad_u64_u32 v[1:2], s[0:1], s24, v7, v[1:2]
	v_add3_u32 v18, v9, v18, v8
	s_addc_u32 s3, s3, 0
	v_mov_b32_e32 v7, s14
	s_add_u32 s6, s6, 8
	v_mov_b32_e32 v8, s15
	s_addc_u32 s7, s7, 0
	v_cmp_ge_u64_e32 vcc, s[22:23], v[7:8]
	s_add_u32 s20, s20, 8
	v_add3_u32 v2, v10, v2, v4
	s_addc_u32 s21, s21, 0
	s_cbranch_vccnz .LBB0_9
; %bb.7:                                ;   in Loop: Header=BB0_2 Depth=1
	v_mov_b32_e32 v8, v6
	v_mov_b32_e32 v7, v5
	s_branch .LBB0_2
.LBB0_8:
	v_mov_b32_e32 v1, v17
	v_mov_b32_e32 v5, v7
	;; [unrolled: 1-line block ×4, first 2 shown]
.LBB0_9:
	s_load_dwordx2 s[0:1], s[4:5], 0x28
	s_lshl_b64 s[6:7], s[14:15], 3
	s_add_u32 s2, s18, s6
	s_addc_u32 s3, s19, s7
                                        ; implicit-def: $vgpr3
                                        ; implicit-def: $vgpr7
                                        ; implicit-def: $vgpr16
                                        ; implicit-def: $vgpr15
                                        ; implicit-def: $vgpr10
                                        ; implicit-def: $vgpr12
                                        ; implicit-def: $vgpr14
                                        ; implicit-def: $vgpr9
	s_waitcnt lgkmcnt(0)
	v_cmp_gt_u64_e32 vcc, s[0:1], v[5:6]
	v_cmp_le_u64_e64 s[0:1], s[0:1], v[5:6]
	s_and_saveexec_b64 s[4:5], s[0:1]
	s_xor_b64 s[0:1], exec, s[4:5]
; %bb.10:
	s_mov_b32 s4, 0x4924925
	v_mul_hi_u32 v3, v0, s4
                                        ; implicit-def: $vgpr17_vgpr18
	v_mul_u32_u24_e32 v3, 56, v3
	v_sub_u32_e32 v3, v0, v3
	v_add_u32_e32 v7, 56, v3
	v_add_u32_e32 v16, 0x70, v3
	;; [unrolled: 1-line block ×7, first 2 shown]
                                        ; implicit-def: $vgpr0
; %bb.11:
	s_andn2_saveexec_b64 s[4:5], s[0:1]
	s_cbranch_execz .LBB0_13
; %bb.12:
	s_add_u32 s0, s16, s6
	s_addc_u32 s1, s17, s7
	s_load_dwordx2 s[0:1], s[0:1], 0x0
	s_mov_b32 s6, 0x4924925
	v_mul_hi_u32 v3, v0, s6
	s_waitcnt lgkmcnt(0)
	v_mul_lo_u32 v4, s1, v5
	v_mul_lo_u32 v9, s0, v6
	v_mad_u64_u32 v[7:8], s[0:1], s0, v5, 0
	v_mul_u32_u24_e32 v3, 56, v3
	v_sub_u32_e32 v3, v0, v3
	v_add3_u32 v8, v8, v9, v4
	v_lshlrev_b64 v[7:8], 2, v[7:8]
	v_mov_b32_e32 v0, s9
	v_add_co_u32_e64 v4, s[0:1], s8, v7
	v_addc_co_u32_e64 v0, s[0:1], v0, v8, s[0:1]
	v_lshlrev_b64 v[7:8], 2, v[17:18]
	v_lshlrev_b32_e32 v11, 2, v3
	v_add_co_u32_e64 v4, s[0:1], v4, v7
	v_addc_co_u32_e64 v0, s[0:1], v0, v8, s[0:1]
	v_add_co_u32_e64 v7, s[0:1], v4, v11
	v_addc_co_u32_e64 v8, s[0:1], 0, v0, s[0:1]
	global_load_dword v0, v[7:8], off offset:896
	global_load_dword v4, v[7:8], off offset:1120
	;; [unrolled: 1-line block ×10, first 2 shown]
	global_load_dword v24, v[7:8], off
	global_load_dword v25, v[7:8], off offset:224
	global_load_dword v26, v[7:8], off offset:448
	;; [unrolled: 1-line block ×4, first 2 shown]
	v_add_u32_e32 v8, 0, v11
	v_add_u32_e32 v7, 56, v3
	v_add_u32_e32 v16, 0x70, v3
	v_add_u32_e32 v15, 0xa8, v3
	v_add_u32_e32 v10, 0xe0, v3
	v_add_u32_e32 v12, 0x118, v3
	v_add_u32_e32 v14, 0x150, v3
	v_add_u32_e32 v9, 0x188, v3
	v_add_u32_e32 v11, 0x200, v8
	v_add_u32_e32 v29, 0x400, v8
	v_add_u32_e32 v30, 0x800, v8
	s_waitcnt vmcnt(13)
	ds_write2_b32 v11, v0, v4 offset0:96 offset1:152
	s_waitcnt vmcnt(11)
	ds_write2_b32 v29, v13, v17 offset0:80 offset1:136
	;; [unrolled: 2-line block ×5, first 2 shown]
	s_waitcnt vmcnt(3)
	ds_write2_b32 v8, v24, v25 offset1:56
	s_waitcnt vmcnt(1)
	ds_write2_b32 v8, v26, v27 offset0:112 offset1:168
	s_waitcnt vmcnt(0)
	ds_write_b32 v8, v28 offset:3136
.LBB0_13:
	s_or_b64 exec, exec, s[4:5]
	v_lshlrev_b32_e32 v4, 2, v3
	v_add_u32_e32 v11, 0, v4
	v_add_u32_e32 v8, 0xa00, v11
	s_load_dwordx2 s[6:7], s[2:3], 0x0
	s_waitcnt lgkmcnt(0)
	; wave barrier
	s_waitcnt lgkmcnt(0)
	v_add_u32_e32 v0, 0x400, v11
	ds_read2_b32 v[18:19], v8 offset0:116 offset1:172
	v_add_u32_e32 v8, 0x200, v11
	ds_read2_b32 v[20:21], v8 offset0:96 offset1:152
	;; [unrolled: 2-line block ×3, first 2 shown]
	ds_read2_b32 v[27:28], v17 offset0:132 offset1:188
	ds_read2_b32 v[29:30], v11 offset0:112 offset1:168
	ds_read2_b32 v[24:25], v11 offset1:56
	ds_read2_b32 v[31:32], v0 offset0:164 offset1:220
	ds_read2_b32 v[33:34], v17 offset0:20 offset1:76
	v_add_u32_e32 v8, v11, v4
	s_waitcnt lgkmcnt(0)
	; wave barrier
	s_waitcnt lgkmcnt(0)
	v_pk_add_f16 v13, v24, v31 neg_lo:[0,1] neg_hi:[0,1]
	v_pk_fma_f16 v24, v24, 2.0, v13 op_sel_hi:[1,0,1] neg_lo:[0,0,1] neg_hi:[0,0,1]
	ds_write2_b32 v8, v24, v13 offset1:1
	v_pk_add_f16 v8, v25, v32 neg_lo:[0,1] neg_hi:[0,1]
	v_pk_fma_f16 v13, v25, 2.0, v8 op_sel_hi:[1,0,1] neg_lo:[0,0,1] neg_hi:[0,0,1]
	v_lshl_add_u32 v25, v7, 3, 0
	ds_write2_b32 v25, v13, v8 offset1:1
	v_pk_add_f16 v8, v29, v33 neg_lo:[0,1] neg_hi:[0,1]
	v_lshl_add_u32 v26, v16, 3, 0
	v_pk_fma_f16 v13, v29, 2.0, v8 op_sel_hi:[1,0,1] neg_lo:[0,0,1] neg_hi:[0,0,1]
	ds_write2_b32 v26, v13, v8 offset1:1
	v_pk_add_f16 v8, v30, v34 neg_lo:[0,1] neg_hi:[0,1]
	v_pk_fma_f16 v13, v30, 2.0, v8 op_sel_hi:[1,0,1] neg_lo:[0,0,1] neg_hi:[0,0,1]
	v_lshl_add_u32 v30, v15, 3, 0
	ds_write2_b32 v30, v13, v8 offset1:1
	v_pk_add_f16 v8, v20, v27 neg_lo:[0,1] neg_hi:[0,1]
	v_lshl_add_u32 v31, v10, 3, 0
	v_pk_fma_f16 v13, v20, 2.0, v8 op_sel_hi:[1,0,1] neg_lo:[0,0,1] neg_hi:[0,0,1]
	ds_write2_b32 v31, v13, v8 offset1:1
	v_pk_add_f16 v8, v21, v28 neg_lo:[0,1] neg_hi:[0,1]
	v_pk_fma_f16 v13, v21, 2.0, v8 op_sel_hi:[1,0,1] neg_lo:[0,0,1] neg_hi:[0,0,1]
	v_lshl_add_u32 v32, v12, 3, 0
	ds_write2_b32 v32, v13, v8 offset1:1
	v_pk_add_f16 v8, v22, v18 neg_lo:[0,1] neg_hi:[0,1]
	v_pk_add_f16 v34, v23, v19 neg_lo:[0,1] neg_hi:[0,1]
	v_lshl_add_u32 v33, v14, 3, 0
	v_pk_fma_f16 v13, v22, 2.0, v8 op_sel_hi:[1,0,1] neg_lo:[0,0,1] neg_hi:[0,0,1]
	v_pk_fma_f16 v29, v23, 2.0, v34 op_sel_hi:[1,0,1] neg_lo:[0,0,1] neg_hi:[0,0,1]
	v_cmp_gt_u32_e64 s[0:1], 28, v3
	ds_write2_b32 v33, v13, v8 offset1:1
	s_and_saveexec_b64 s[2:3], s[0:1]
	s_cbranch_execz .LBB0_15
; %bb.14:
	v_lshl_add_u32 v8, v9, 3, 0
	ds_write2_b32 v8, v29, v34 offset1:1
.LBB0_15:
	s_or_b64 exec, exec, s[2:3]
	v_lshlrev_b32_e32 v37, 2, v15
	v_lshlrev_b32_e32 v44, 2, v12
	;; [unrolled: 1-line block ×4, first 2 shown]
	v_sub_u32_e32 v8, v30, v37
	v_lshlrev_b32_e32 v38, 2, v10
	v_sub_u32_e32 v18, v32, v44
	v_sub_u32_e32 v19, v33, v45
	v_lshlrev_b32_e32 v39, 2, v7
	s_waitcnt lgkmcnt(0)
	; wave barrier
	s_waitcnt lgkmcnt(0)
	v_sub_u32_e32 v27, v26, v35
	v_sub_u32_e32 v13, v31, v38
	ds_read_b32 v47, v8
	ds_read_b32 v46, v13
	;; [unrolled: 1-line block ×4, first 2 shown]
	v_sub_u32_e32 v28, v25, v39
	ds_read_b32 v50, v11
	ds_read2_b32 v[21:22], v0 offset0:164 offset1:220
	ds_read2_b32 v[19:20], v17 offset0:20 offset1:76
	;; [unrolled: 1-line block ×3, first 2 shown]
	ds_read_b32 v48, v27
	ds_read_b32 v49, v28
	ds_read_b32 v51, v11 offset:3024
	v_lshlrev_b32_e32 v8, 1, v7
	v_lshlrev_b32_e32 v13, 1, v16
	;; [unrolled: 1-line block ×6, first 2 shown]
	v_lshrrev_b32_e32 v43, 16, v34
	v_lshl_add_u32 v0, v9, 2, 0
	s_and_saveexec_b64 s[2:3], s[0:1]
	s_cbranch_execz .LBB0_17
; %bb.16:
	ds_read_b32 v34, v11 offset:3248
	ds_read_b32 v29, v0
	s_waitcnt lgkmcnt(1)
	v_lshrrev_b32_e32 v43, 16, v34
.LBB0_17:
	s_or_b64 exec, exec, s[2:3]
	v_sub_u32_e32 v41, 0, v39
	v_sub_u32_e32 v39, 0, v37
	v_sub_u32_e32 v37, 0, v44
	v_sub_u32_e32 v44, 0, v45
	v_and_b32_e32 v45, 1, v3
	v_lshlrev_b32_e32 v52, 2, v45
	global_load_dword v52, v52, s[12:13]
	v_sub_u32_e32 v40, 0, v35
	v_lshlrev_b32_e32 v35, 1, v3
	s_movk_i32 s2, 0x7c
	v_and_or_b32 v54, v35, s2, v45
	s_movk_i32 s2, 0xfc
	v_and_or_b32 v55, v8, s2, v45
	;; [unrolled: 2-line block ×3, first 2 shown]
	v_and_or_b32 v57, v23, s2, v45
	s_movk_i32 s2, 0x3fc
	s_waitcnt lgkmcnt(0)
	v_lshrrev_b32_e32 v53, 16, v29
	v_and_or_b32 v58, v24, s2, v45
	v_and_or_b32 v60, v28, s2, v45
	s_mov_b32 s2, 0xffff
	v_lshl_add_u32 v54, v54, 2, 0
	s_waitcnt lgkmcnt(0)
	; wave barrier
	v_lshl_add_u32 v55, v55, 2, 0
	v_lshl_add_u32 v56, v56, 2, 0
	;; [unrolled: 1-line block ×4, first 2 shown]
	s_movk_i32 s3, 0x2fc
	v_and_or_b32 v59, v27, s3, v45
	v_sub_u32_e32 v38, 0, v38
	v_lshl_add_u32 v59, v59, 2, 0
	v_lshl_add_u32 v60, v60, 2, 0
	s_waitcnt vmcnt(0)
	v_pk_mul_f16 v61, v52, v51 op_sel:[0,1]
	v_pk_fma_f16 v62, v52, v51, v61 op_sel:[0,0,1] op_sel_hi:[1,1,0]
	v_pk_fma_f16 v51, v52, v51, v61 op_sel:[0,0,1] op_sel_hi:[1,0,0] neg_lo:[1,0,0] neg_hi:[1,0,0]
	v_mul_f16_sdwa v61, v43, v52 dst_sel:DWORD dst_unused:UNUSED_PAD src0_sel:DWORD src1_sel:WORD_1
	v_fma_f16 v61, v34, v52, v61
	v_mul_f16_sdwa v34, v34, v52 dst_sel:DWORD dst_unused:UNUSED_PAD src0_sel:DWORD src1_sel:WORD_1
	v_fma_f16 v34, v43, v52, -v34
	v_bfi_b32 v51, s2, v62, v51
	v_sub_f16_e32 v43, v53, v34
	v_pk_add_f16 v51, v42, v51 neg_lo:[0,1] neg_hi:[0,1]
	v_fma_f16 v34, v53, 2.0, -v43
	v_pk_mul_f16 v53, v52, v21 op_sel:[0,1]
	v_pk_fma_f16 v62, v42, 2.0, v51 op_sel_hi:[1,0,1] neg_lo:[0,0,1] neg_hi:[0,0,1]
	v_sub_f16_e32 v42, v29, v61
	v_pk_fma_f16 v61, v52, v21, v53 op_sel:[0,0,1] op_sel_hi:[1,1,0]
	v_pk_fma_f16 v21, v52, v21, v53 op_sel:[0,0,1] op_sel_hi:[1,0,0] neg_lo:[1,0,0] neg_hi:[1,0,0]
	v_bfi_b32 v21, s2, v61, v21
	v_pk_add_f16 v21, v50, v21 neg_lo:[0,1] neg_hi:[0,1]
	v_pk_fma_f16 v50, v50, 2.0, v21 op_sel_hi:[1,0,1] neg_lo:[0,0,1] neg_hi:[0,0,1]
	ds_write2_b32 v54, v50, v21 offset1:2
	v_pk_mul_f16 v21, v52, v22 op_sel:[0,1]
	v_pk_fma_f16 v50, v52, v22, v21 op_sel:[0,0,1] op_sel_hi:[1,1,0]
	v_pk_fma_f16 v21, v52, v22, v21 op_sel:[0,0,1] op_sel_hi:[1,0,0] neg_lo:[1,0,0] neg_hi:[1,0,0]
	v_bfi_b32 v21, s2, v50, v21
	v_pk_add_f16 v21, v49, v21 neg_lo:[0,1] neg_hi:[0,1]
	v_pk_fma_f16 v22, v49, 2.0, v21 op_sel_hi:[1,0,1] neg_lo:[0,0,1] neg_hi:[0,0,1]
	ds_write2_b32 v55, v22, v21 offset1:2
	v_pk_mul_f16 v21, v52, v19 op_sel:[0,1]
	;; [unrolled: 7-line block ×5, first 2 shown]
	v_pk_fma_f16 v19, v52, v18, v17 op_sel:[0,0,1] op_sel_hi:[1,1,0]
	v_pk_fma_f16 v17, v52, v18, v17 op_sel:[0,0,1] op_sel_hi:[1,0,0] neg_lo:[1,0,0] neg_hi:[1,0,0]
	v_bfi_b32 v17, s2, v19, v17
	v_pk_add_f16 v17, v36, v17 neg_lo:[0,1] neg_hi:[0,1]
	v_fma_f16 v29, v29, 2.0, -v42
	v_pk_fma_f16 v18, v36, 2.0, v17 op_sel_hi:[1,0,1] neg_lo:[0,0,1] neg_hi:[0,0,1]
	v_lshlrev_b32_e32 v46, 1, v9
	ds_write2_b32 v59, v18, v17 offset1:2
	ds_write2_b32 v60, v62, v51 offset1:2
	s_and_saveexec_b64 s[2:3], s[0:1]
	s_cbranch_execz .LBB0_19
; %bb.18:
	s_movk_i32 s4, 0x37c
	v_and_or_b32 v17, v46, s4, v45
	s_mov_b32 s4, 0x5040100
	v_lshl_add_u32 v17, v17, 2, 0
	v_perm_b32 v18, v34, v29, s4
	v_perm_b32 v19, v43, v42, s4
	ds_write2_b32 v17, v18, v19 offset1:2
.LBB0_19:
	s_or_b64 exec, exec, s[2:3]
	v_add_u32_e32 v17, 0x400, v11
	v_add_u32_e32 v40, v26, v40
	;; [unrolled: 1-line block ×3, first 2 shown]
	s_waitcnt lgkmcnt(0)
	; wave barrier
	s_waitcnt lgkmcnt(0)
	ds_read_b32 v45, v11
	ds_read2_b32 v[17:18], v17 offset0:164 offset1:220
	v_add_u32_e32 v41, v25, v41
	ds_read2_b32 v[19:20], v21 offset0:20 offset1:76
	v_add_u32_e32 v39, v30, v39
	v_add_u32_e32 v38, v31, v38
	ds_read2_b32 v[21:22], v21 offset0:132 offset1:188
	v_add_u32_e32 v37, v32, v37
	v_add_u32_e32 v36, v33, v44
	ds_read_b32 v25, v40
	ds_read_b32 v26, v39
	ds_read_b32 v30, v38
	ds_read_b32 v31, v37
	ds_read_b32 v33, v36
	ds_read_b32 v32, v41
	ds_read_b32 v47, v11 offset:3024
	s_and_saveexec_b64 s[2:3], s[0:1]
	s_cbranch_execz .LBB0_21
; %bb.20:
	ds_read_b32 v29, v0
	ds_read_b32 v42, v11 offset:3248
	s_waitcnt lgkmcnt(1)
	v_lshrrev_b32_e32 v34, 16, v29
	s_waitcnt lgkmcnt(0)
	v_lshrrev_b32_e32 v43, 16, v42
.LBB0_21:
	s_or_b64 exec, exec, s[2:3]
	v_and_b32_e32 v44, 3, v3
	v_lshlrev_b32_e32 v48, 2, v44
	global_load_dword v48, v48, s[12:13] offset:8
	s_movk_i32 s3, 0xf8
	v_and_or_b32 v8, v8, s3, v44
	v_lshl_add_u32 v49, v8, 2, 0
	s_mov_b32 s9, 0xffff
	s_movk_i32 s2, 0x78
	s_movk_i32 s4, 0x1f8
	;; [unrolled: 1-line block ×4, first 2 shown]
	v_and_or_b32 v35, v35, s2, v44
	v_and_or_b32 v13, v13, s4, v44
	;; [unrolled: 1-line block ×6, first 2 shown]
	v_lshl_add_u32 v35, v35, 2, 0
	v_lshl_add_u32 v13, v13, 2, 0
	;; [unrolled: 1-line block ×6, first 2 shown]
	s_waitcnt lgkmcnt(0)
	; wave barrier
	s_waitcnt vmcnt(0) lgkmcnt(0)
	v_pk_mul_f16 v8, v48, v47 op_sel:[0,1]
	v_mul_f16_sdwa v50, v43, v48 dst_sel:DWORD dst_unused:UNUSED_PAD src0_sel:DWORD src1_sel:WORD_1
	v_pk_mul_f16 v52, v48, v17 op_sel:[0,1]
	v_mul_f16_sdwa v51, v42, v48 dst_sel:DWORD dst_unused:UNUSED_PAD src0_sel:DWORD src1_sel:WORD_1
	v_pk_mul_f16 v53, v48, v18 op_sel:[0,1]
	v_pk_mul_f16 v54, v48, v19 op_sel:[0,1]
	v_pk_mul_f16 v55, v48, v20 op_sel:[0,1]
	v_pk_mul_f16 v56, v48, v21 op_sel:[0,1]
	v_pk_mul_f16 v57, v48, v22 op_sel:[0,1]
	v_pk_fma_f16 v58, v48, v47, v8 op_sel:[0,0,1] op_sel_hi:[1,1,0]
	v_pk_fma_f16 v8, v48, v47, v8 op_sel:[0,0,1] op_sel_hi:[1,0,0] neg_lo:[1,0,0] neg_hi:[1,0,0]
	v_fma_f16 v42, v42, v48, v50
	v_pk_fma_f16 v47, v48, v17, v52 op_sel:[0,0,1] op_sel_hi:[1,1,0]
	v_pk_fma_f16 v50, v48, v17, v52 op_sel:[0,0,1] op_sel_hi:[1,0,0] neg_lo:[1,0,0] neg_hi:[1,0,0]
	v_fma_f16 v43, v43, v48, -v51
	v_pk_fma_f16 v51, v48, v18, v53 op_sel:[0,0,1] op_sel_hi:[1,1,0]
	v_pk_fma_f16 v18, v48, v18, v53 op_sel:[0,0,1] op_sel_hi:[1,0,0] neg_lo:[1,0,0] neg_hi:[1,0,0]
	v_pk_fma_f16 v52, v48, v19, v54 op_sel:[0,0,1] op_sel_hi:[1,1,0]
	v_pk_fma_f16 v19, v48, v19, v54 op_sel:[0,0,1] op_sel_hi:[1,0,0] neg_lo:[1,0,0] neg_hi:[1,0,0]
	v_pk_fma_f16 v53, v48, v20, v55 op_sel:[0,0,1] op_sel_hi:[1,1,0]
	v_pk_fma_f16 v20, v48, v20, v55 op_sel:[0,0,1] op_sel_hi:[1,0,0] neg_lo:[1,0,0] neg_hi:[1,0,0]
	v_pk_fma_f16 v54, v48, v21, v56 op_sel:[0,0,1] op_sel_hi:[1,1,0]
	v_pk_fma_f16 v21, v48, v21, v56 op_sel:[0,0,1] op_sel_hi:[1,0,0] neg_lo:[1,0,0] neg_hi:[1,0,0]
	v_pk_fma_f16 v55, v48, v22, v57 op_sel:[0,0,1] op_sel_hi:[1,1,0]
	v_pk_fma_f16 v22, v48, v22, v57 op_sel:[0,0,1] op_sel_hi:[1,0,0] neg_lo:[1,0,0] neg_hi:[1,0,0]
	v_sub_f16_e32 v17, v29, v42
	v_bfi_b32 v42, s9, v47, v50
	v_bfi_b32 v48, s9, v58, v8
	;; [unrolled: 1-line block ×7, first 2 shown]
	v_pk_add_f16 v42, v45, v42 neg_lo:[0,1] neg_hi:[0,1]
	v_sub_f16_e32 v8, v34, v43
	v_pk_add_f16 v43, v33, v48 neg_lo:[0,1] neg_hi:[0,1]
	v_pk_add_f16 v18, v32, v18 neg_lo:[0,1] neg_hi:[0,1]
	;; [unrolled: 1-line block ×6, first 2 shown]
	v_pk_fma_f16 v45, v45, 2.0, v42 op_sel_hi:[1,0,1] neg_lo:[0,0,1] neg_hi:[0,0,1]
	v_pk_fma_f16 v33, v33, 2.0, v43 op_sel_hi:[1,0,1] neg_lo:[0,0,1] neg_hi:[0,0,1]
	;; [unrolled: 1-line block ×7, first 2 shown]
	ds_write2_b32 v35, v45, v42 offset1:4
	ds_write2_b32 v49, v32, v18 offset1:4
	;; [unrolled: 1-line block ×7, first 2 shown]
	s_and_saveexec_b64 s[2:3], s[0:1]
	s_cbranch_execz .LBB0_23
; %bb.22:
	s_movk_i32 s4, 0x378
	v_and_or_b32 v13, v46, s4, v44
	v_fma_f16 v18, v29, 2.0, -v17
	v_fma_f16 v19, v34, 2.0, -v8
	s_mov_b32 s4, 0x5040100
	v_lshl_add_u32 v13, v13, 2, 0
	v_pack_b32_f16 v18, v18, v19
	v_perm_b32 v19, v8, v17, s4
	ds_write2_b32 v13, v18, v19 offset1:4
.LBB0_23:
	s_or_b64 exec, exec, s[2:3]
	v_and_b32_e32 v13, 7, v3
	v_lshlrev_b32_e32 v18, 3, v13
	s_waitcnt lgkmcnt(0)
	; wave barrier
	s_waitcnt lgkmcnt(0)
	global_load_dwordx2 v[18:19], v18, s[12:13] offset:24
	v_add_u32_e32 v44, 0x400, v11
	ds_read_b32 v28, v11
	v_add_u32_e32 v35, 0x800, v11
	ds_read_b32 v29, v39
	ds_read_b32 v30, v37
	;; [unrolled: 1-line block ×5, first 2 shown]
	ds_read_b32 v34, v11 offset:3136
	ds_read2_b32 v[20:21], v44 offset0:192 offset1:248
	ds_read2_b32 v[22:23], v35 offset0:160 offset1:216
	;; [unrolled: 1-line block ×4, first 2 shown]
	s_waitcnt lgkmcnt(8)
	v_lshrrev_b32_e32 v42, 16, v30
	v_lshrrev_b32_e32 v43, 16, v28
	s_waitcnt lgkmcnt(2)
	v_lshrrev_b32_e32 v51, 16, v23
	v_lshrrev_b32_e32 v49, 16, v34
	s_waitcnt lgkmcnt(1)
	v_lshrrev_b32_e32 v53, 16, v24
	s_waitcnt lgkmcnt(0)
	v_lshrrev_b32_e32 v54, 16, v26
	v_lshrrev_b32_e32 v55, 16, v25
	;; [unrolled: 1-line block ×6, first 2 shown]
	s_mov_b32 s2, 0xbaee
	s_movk_i32 s3, 0x3aee
	v_lshrrev_b32_e32 v45, 16, v33
	v_lshrrev_b32_e32 v46, 16, v32
	v_lshrrev_b32_e32 v47, 16, v29
	v_lshrrev_b32_e32 v48, 16, v31
	s_waitcnt lgkmcnt(0)
	; wave barrier
	s_movk_i32 s5, 0x3b9c
	s_movk_i32 s8, 0x38b4
	;; [unrolled: 1-line block ×3, first 2 shown]
	s_waitcnt vmcnt(0)
	v_mul_f16_sdwa v59, v19, v24 dst_sel:DWORD dst_unused:UNUSED_PAD src0_sel:WORD_1 src1_sel:DWORD
	v_mul_f16_sdwa v74, v18, v42 dst_sel:DWORD dst_unused:UNUSED_PAD src0_sel:WORD_1 src1_sel:DWORD
	;; [unrolled: 1-line block ×9, first 2 shown]
	v_mul_f16_sdwa v70, v51, v19 dst_sel:DWORD dst_unused:UNUSED_PAD src0_sel:DWORD src1_sel:WORD_1
	v_mul_f16_sdwa v71, v23, v19 dst_sel:DWORD dst_unused:UNUSED_PAD src0_sel:DWORD src1_sel:WORD_1
	;; [unrolled: 1-line block ×4, first 2 shown]
	v_fma_f16 v30, v18, v30, v74
	v_fma_f16 v42, v18, v42, -v75
	v_fma_f16 v53, v19, v53, -v59
	v_mul_f16_sdwa v61, v18, v26 dst_sel:DWORD dst_unused:UNUSED_PAD src0_sel:WORD_1 src1_sel:DWORD
	v_mul_f16_sdwa v64, v18, v56 dst_sel:DWORD dst_unused:UNUSED_PAD src0_sel:WORD_1 src1_sel:DWORD
	;; [unrolled: 1-line block ×3, first 2 shown]
	v_mul_f16_sdwa v68, v50, v18 dst_sel:DWORD dst_unused:UNUSED_PAD src0_sel:DWORD src1_sel:WORD_1
	v_mul_f16_sdwa v69, v20, v18 dst_sel:DWORD dst_unused:UNUSED_PAD src0_sel:DWORD src1_sel:WORD_1
	v_mul_f16_sdwa v72, v52, v18 dst_sel:DWORD dst_unused:UNUSED_PAD src0_sel:DWORD src1_sel:WORD_1
	v_mul_f16_sdwa v73, v21, v18 dst_sel:DWORD dst_unused:UNUSED_PAD src0_sel:DWORD src1_sel:WORD_1
	v_fma_f16 v24, v19, v24, v58
	v_fma_f16 v25, v19, v25, v62
	;; [unrolled: 1-line block ×5, first 2 shown]
	v_fma_f16 v55, v19, v55, -v63
	v_fma_f16 v57, v19, v57, -v67
	;; [unrolled: 1-line block ×3, first 2 shown]
	v_fma_f16 v34, v34, v19, v76
	v_fma_f16 v19, v49, v19, -v77
	v_add_f16_e32 v49, v28, v30
	v_sub_f16_e32 v58, v42, v53
	v_add_f16_e32 v59, v43, v42
	v_add_f16_e32 v42, v42, v53
	v_fma_f16 v27, v18, v27, v64
	v_fma_f16 v20, v20, v18, v68
	v_fma_f16 v21, v21, v18, v72
	v_fma_f16 v54, v18, v54, -v61
	v_fma_f16 v56, v18, v56, -v65
	;; [unrolled: 1-line block ×4, first 2 shown]
	v_add_f16_e32 v52, v30, v24
	v_sub_f16_e32 v30, v30, v24
	v_add_f16_e32 v24, v49, v24
	v_add_f16_e32 v49, v59, v53
	v_fma_f16 v42, v42, -0.5, v43
	v_add_f16_e32 v53, v26, v25
	v_fma_f16 v28, v52, -0.5, v28
	v_fma_f16 v52, v30, s3, v42
	v_fma_f16 v30, v30, s2, v42
	v_add_f16_e32 v42, v33, v26
	v_fma_f16 v33, v53, -0.5, v33
	v_sub_f16_e32 v53, v54, v55
	v_fma_f16 v43, v58, s2, v28
	v_fma_f16 v28, v58, s3, v28
	;; [unrolled: 1-line block ×4, first 2 shown]
	v_add_f16_e32 v53, v45, v54
	v_add_f16_e32 v54, v54, v55
	;; [unrolled: 1-line block ×3, first 2 shown]
	v_fma_f16 v45, v54, -0.5, v45
	v_sub_f16_e32 v25, v26, v25
	v_add_f16_e32 v54, v27, v22
	v_fma_f16 v26, v25, s3, v45
	v_fma_f16 v25, v25, s2, v45
	v_add_f16_e32 v45, v32, v27
	v_fma_f16 v32, v54, -0.5, v32
	v_sub_f16_e32 v54, v56, v57
	v_add_f16_e32 v53, v53, v55
	v_fma_f16 v55, v54, s2, v32
	v_fma_f16 v32, v54, s3, v32
	v_add_f16_e32 v54, v46, v56
	v_add_f16_e32 v56, v56, v57
	;; [unrolled: 1-line block ×3, first 2 shown]
	v_fma_f16 v46, v56, -0.5, v46
	v_sub_f16_e32 v22, v27, v22
	v_add_f16_e32 v56, v20, v23
	v_fma_f16 v27, v22, s3, v46
	v_fma_f16 v22, v22, s2, v46
	v_add_f16_e32 v46, v29, v20
	v_fma_f16 v29, v56, -0.5, v29
	v_sub_f16_e32 v56, v50, v51
	v_add_f16_e32 v54, v54, v57
	v_fma_f16 v57, v56, s2, v29
	v_fma_f16 v29, v56, s3, v29
	v_add_f16_e32 v56, v47, v50
	v_add_f16_e32 v50, v50, v51
	v_fma_f16 v47, v50, -0.5, v47
	v_sub_f16_e32 v20, v20, v23
	v_add_f16_e32 v50, v21, v34
	v_add_f16_e32 v46, v46, v23
	v_fma_f16 v23, v20, s3, v47
	v_fma_f16 v20, v20, s2, v47
	v_add_f16_e32 v47, v31, v21
	v_fma_f16 v31, v50, -0.5, v31
	v_sub_f16_e32 v50, v18, v19
	v_add_f16_e32 v56, v56, v51
	v_fma_f16 v51, v50, s2, v31
	v_fma_f16 v31, v50, s3, v31
	v_add_f16_e32 v50, v48, v18
	v_add_f16_e32 v18, v18, v19
	;; [unrolled: 1-line block ×3, first 2 shown]
	v_fma_f16 v18, v18, -0.5, v48
	v_sub_f16_e32 v19, v21, v34
	v_fma_f16 v21, v19, s3, v18
	v_fma_f16 v18, v19, s2, v18
	v_lshrrev_b32_e32 v19, 3, v3
	v_add_f16_e32 v47, v47, v34
	v_mul_u32_u24_e32 v19, 24, v19
	v_pack_b32_f16 v34, v43, v52
	v_lshrrev_b32_e32 v43, 3, v7
	v_or_b32_e32 v19, v19, v13
	v_mul_lo_u32 v43, v43, 24
	v_lshl_add_u32 v19, v19, 2, 0
	v_pack_b32_f16 v24, v24, v49
	ds_write2_b32 v19, v24, v34 offset1:8
	v_pack_b32_f16 v24, v28, v30
	v_lshrrev_b32_e32 v28, 3, v16
	v_mul_lo_u32 v28, v28, 24
	ds_write_b32 v19, v24 offset:64
	v_or_b32_e32 v19, v43, v13
	v_lshl_add_u32 v19, v19, 2, 0
	v_pack_b32_f16 v24, v42, v53
	v_pack_b32_f16 v26, v58, v26
	ds_write2_b32 v19, v24, v26 offset1:8
	v_pack_b32_f16 v24, v33, v25
	ds_write_b32 v19, v24 offset:64
	v_or_b32_e32 v19, v28, v13
	v_lshl_add_u32 v19, v19, 2, 0
	v_pack_b32_f16 v24, v45, v54
	v_pack_b32_f16 v25, v55, v27
	v_lshrrev_b32_e32 v26, 3, v15
	v_mul_lo_u32 v26, v26, 24
	ds_write2_b32 v19, v24, v25 offset1:8
	v_lshrrev_b32_e32 v24, 3, v10
	v_mul_lo_u32 v24, v24, 24
	v_pack_b32_f16 v22, v32, v22
	ds_write_b32 v19, v22 offset:64
	v_or_b32_e32 v19, v26, v13
	v_lshl_add_u32 v19, v19, 2, 0
	v_pack_b32_f16 v22, v46, v56
	v_pack_b32_f16 v23, v57, v23
	;; [unrolled: 1-line block ×3, first 2 shown]
	v_or_b32_e32 v13, v24, v13
	ds_write2_b32 v19, v22, v23 offset1:8
	ds_write_b32 v19, v20 offset:64
	v_lshl_add_u32 v13, v13, 2, 0
	v_pack_b32_f16 v19, v47, v50
	v_pack_b32_f16 v20, v51, v21
	;; [unrolled: 1-line block ×3, first 2 shown]
	s_movk_i32 s2, 0xab
	ds_write2_b32 v13, v19, v20 offset1:8
	ds_write_b32 v13, v18 offset:64
	v_mul_lo_u16_sdwa v13, v3, s2 dst_sel:DWORD dst_unused:UNUSED_PAD src0_sel:BYTE_0 src1_sel:DWORD
	v_lshrrev_b16_e32 v18, 12, v13
	v_mul_lo_u16_e32 v13, 24, v18
	v_sub_u16_e32 v13, v3, v13
	v_mov_b32_e32 v29, 4
	v_lshlrev_b32_sdwa v19, v29, v13 dst_sel:DWORD dst_unused:UNUSED_PAD src0_sel:DWORD src1_sel:BYTE_0
	s_waitcnt lgkmcnt(0)
	; wave barrier
	s_waitcnt lgkmcnt(0)
	global_load_dwordx4 v[21:24], v19, s[12:13] offset:88
	v_mul_lo_u16_sdwa v19, v16, s2 dst_sel:DWORD dst_unused:UNUSED_PAD src0_sel:BYTE_0 src1_sel:DWORD
	v_lshrrev_b16_e32 v19, 12, v19
	v_mul_lo_u16_e32 v20, 24, v19
	v_sub_u16_e32 v48, v16, v20
	v_lshlrev_b32_sdwa v20, v29, v48 dst_sel:DWORD dst_unused:UNUSED_PAD src0_sel:DWORD src1_sel:BYTE_0
	global_load_dwordx4 v[25:28], v20, s[12:13] offset:88
	v_mul_lo_u16_sdwa v20, v7, s2 dst_sel:DWORD dst_unused:UNUSED_PAD src0_sel:BYTE_0 src1_sel:DWORD
	v_lshrrev_b16_e32 v20, 12, v20
	v_mul_lo_u16_e32 v30, 24, v20
	v_sub_u16_e32 v49, v7, v30
	v_lshlrev_b32_sdwa v29, v29, v49 dst_sel:DWORD dst_unused:UNUSED_PAD src0_sel:DWORD src1_sel:BYTE_0
	global_load_dwordx4 v[29:32], v29, s[12:13] offset:88
	ds_read2_b32 v[33:34], v44 offset0:192 offset1:248
	ds_read_b32 v50, v36
	ds_read_b32 v51, v39
	ds_read2_b32 v[42:43], v35 offset0:160 offset1:216
	ds_read2_b32 v[44:45], v44 offset0:24 offset1:136
	;; [unrolled: 1-line block ×3, first 2 shown]
	ds_read_b32 v35, v41
	ds_read_b32 v52, v40
	s_waitcnt lgkmcnt(5)
	v_lshrrev_b32_e32 v53, 16, v51
	ds_read_u16 v57, v11 offset:898
	s_waitcnt lgkmcnt(3)
	v_lshrrev_b32_e32 v56, 16, v47
	s_mov_b32 s2, 0xbb9c
	s_mov_b32 s3, 0xb8b4
	v_mul_u32_u24_e32 v18, 0x1e0, v18
	s_waitcnt vmcnt(2)
	v_mul_f16_sdwa v54, v21, v53 dst_sel:DWORD dst_unused:UNUSED_PAD src0_sel:WORD_1 src1_sel:DWORD
	v_fma_f16 v54, v21, v51, v54
	v_mul_f16_sdwa v51, v21, v51 dst_sel:DWORD dst_unused:UNUSED_PAD src0_sel:WORD_1 src1_sel:DWORD
	v_fma_f16 v51, v21, v53, -v51
	v_lshrrev_b32_e32 v21, 16, v50
	v_mul_f16_sdwa v53, v22, v21 dst_sel:DWORD dst_unused:UNUSED_PAD src0_sel:WORD_1 src1_sel:DWORD
	v_fma_f16 v53, v22, v50, v53
	v_mul_f16_sdwa v50, v22, v50 dst_sel:DWORD dst_unused:UNUSED_PAD src0_sel:WORD_1 src1_sel:DWORD
	v_fma_f16 v50, v22, v21, -v50
	v_lshrrev_b32_e32 v21, 16, v34
	;; [unrolled: 5-line block ×3, first 2 shown]
	v_mul_f16_sdwa v22, v24, v42 dst_sel:DWORD dst_unused:UNUSED_PAD src0_sel:WORD_1 src1_sel:DWORD
	v_fma_f16 v34, v24, v21, -v22
	v_mul_f16_sdwa v21, v24, v21 dst_sel:DWORD dst_unused:UNUSED_PAD src0_sel:WORD_1 src1_sel:DWORD
	v_fma_f16 v24, v24, v42, v21
	v_lshrrev_b32_e32 v21, 16, v44
	s_waitcnt vmcnt(1)
	v_mul_f16_sdwa v42, v21, v25 dst_sel:DWORD dst_unused:UNUSED_PAD src0_sel:DWORD src1_sel:WORD_1
	v_fma_f16 v42, v44, v25, v42
	v_mul_f16_sdwa v44, v44, v25 dst_sel:DWORD dst_unused:UNUSED_PAD src0_sel:DWORD src1_sel:WORD_1
	v_fma_f16 v25, v21, v25, -v44
	ds_read_b32 v21, v11 offset:3136
	v_lshrrev_b32_e32 v22, 16, v33
	v_mul_f16_sdwa v44, v22, v26 dst_sel:DWORD dst_unused:UNUSED_PAD src0_sel:DWORD src1_sel:WORD_1
	v_fma_f16 v44, v33, v26, v44
	v_mul_f16_sdwa v33, v33, v26 dst_sel:DWORD dst_unused:UNUSED_PAD src0_sel:DWORD src1_sel:WORD_1
	s_waitcnt lgkmcnt(0)
	v_lshrrev_b32_e32 v58, 16, v21
	v_fma_f16 v26, v22, v26, -v33
	v_mul_f16_sdwa v22, v58, v28 dst_sel:DWORD dst_unused:UNUSED_PAD src0_sel:DWORD src1_sel:WORD_1
	v_fma_f16 v33, v21, v28, v22
	v_mul_f16_sdwa v21, v21, v28 dst_sel:DWORD dst_unused:UNUSED_PAD src0_sel:DWORD src1_sel:WORD_1
	v_fma_f16 v28, v58, v28, -v21
	v_mul_f16_sdwa v21, v47, v27 dst_sel:DWORD dst_unused:UNUSED_PAD src0_sel:DWORD src1_sel:WORD_1
	v_fma_f16 v58, v56, v27, -v21
	v_mul_f16_sdwa v21, v56, v27 dst_sel:DWORD dst_unused:UNUSED_PAD src0_sel:DWORD src1_sel:WORD_1
	v_lshrrev_b32_e32 v56, 16, v43
	v_fma_f16 v27, v47, v27, v21
	v_lshrrev_b32_e32 v47, 16, v45
	s_waitcnt vmcnt(0)
	v_mul_f16_sdwa v21, v56, v32 dst_sel:DWORD dst_unused:UNUSED_PAD src0_sel:DWORD src1_sel:WORD_1
	v_fma_f16 v59, v43, v32, v21
	v_mul_f16_sdwa v21, v47, v30 dst_sel:DWORD dst_unused:UNUSED_PAD src0_sel:DWORD src1_sel:WORD_1
	v_mul_f16_sdwa v60, v45, v30 dst_sel:DWORD dst_unused:UNUSED_PAD src0_sel:DWORD src1_sel:WORD_1
	v_fma_f16 v45, v45, v30, v21
	ds_read2_b32 v[21:22], v11 offset1:224
	v_mul_f16_sdwa v43, v43, v32 dst_sel:DWORD dst_unused:UNUSED_PAD src0_sel:DWORD src1_sel:WORD_1
	v_fma_f16 v30, v47, v30, -v60
	v_lshrrev_b32_e32 v47, 16, v46
	v_fma_f16 v32, v56, v32, -v43
	v_mul_f16_sdwa v43, v47, v31 dst_sel:DWORD dst_unused:UNUSED_PAD src0_sel:DWORD src1_sel:WORD_1
	v_fma_f16 v43, v46, v31, v43
	v_mul_f16_sdwa v46, v46, v31 dst_sel:DWORD dst_unused:UNUSED_PAD src0_sel:DWORD src1_sel:WORD_1
	v_fma_f16 v31, v47, v31, -v46
	v_mul_f16_sdwa v47, v57, v29 dst_sel:DWORD dst_unused:UNUSED_PAD src0_sel:DWORD src1_sel:WORD_1
	s_waitcnt lgkmcnt(0)
	v_mul_f16_sdwa v46, v29, v22 dst_sel:DWORD dst_unused:UNUSED_PAD src0_sel:WORD_1 src1_sel:DWORD
	v_fma_f16 v22, v29, v22, v47
	v_mov_b32_e32 v47, 2
	v_fma_f16 v46, v57, v29, -v46
	v_lshlrev_b32_sdwa v56, v47, v13 dst_sel:DWORD dst_unused:UNUSED_PAD src0_sel:DWORD src1_sel:BYTE_0
	v_lshlrev_b32_sdwa v49, v47, v49 dst_sel:DWORD dst_unused:UNUSED_PAD src0_sel:DWORD src1_sel:BYTE_0
	;; [unrolled: 1-line block ×3, first 2 shown]
	v_add_f16_e32 v48, v53, v55
	v_add_f16_e32 v57, v54, v24
	v_lshrrev_b32_e32 v29, 16, v21
	v_add_f16_e32 v13, v21, v54
	v_fma_f16 v48, v48, -0.5, v21
	v_fma_f16 v21, v57, -0.5, v21
	v_sub_f16_e32 v57, v54, v53
	v_sub_f16_e32 v60, v24, v55
	v_add_f16_e32 v57, v57, v60
	v_sub_f16_e32 v60, v51, v34
	v_fma_f16 v61, v60, s2, v48
	v_sub_f16_e32 v62, v50, v23
	v_fma_f16 v48, v60, s5, v48
	v_fma_f16 v61, v62, s3, v61
	v_fma_f16 v48, v62, s8, v48
	v_fma_f16 v61, v57, s4, v61
	v_fma_f16 v48, v57, s4, v48
	v_sub_f16_e32 v57, v53, v54
	v_sub_f16_e32 v63, v55, v24
	v_add_f16_e32 v57, v57, v63
	v_fma_f16 v63, v62, s5, v21
	v_fma_f16 v21, v62, s2, v21
	v_add_f16_e32 v13, v13, v53
	v_fma_f16 v62, v60, s3, v63
	v_fma_f16 v21, v60, s8, v21
	;; [unrolled: 3-line block ×3, first 2 shown]
	v_add_f16_e32 v57, v13, v24
	v_sub_f16_e32 v13, v54, v24
	v_sub_f16_e32 v24, v53, v55
	;; [unrolled: 1-line block ×4, first 2 shown]
	v_add_f16_e32 v53, v53, v54
	v_add_f16_e32 v54, v50, v23
	v_fma_f16 v54, v54, -0.5, v29
	v_fma_f16 v55, v13, s5, v54
	v_fma_f16 v54, v13, s2, v54
	;; [unrolled: 1-line block ×6, first 2 shown]
	v_add_f16_e32 v54, v51, v34
	v_fma_f16 v54, v54, -0.5, v29
	v_add_f16_e32 v29, v29, v51
	v_add_f16_e32 v29, v29, v50
	;; [unrolled: 1-line block ×3, first 2 shown]
	v_sub_f16_e32 v50, v50, v51
	v_add_f16_e32 v29, v29, v34
	v_sub_f16_e32 v23, v23, v34
	v_fma_f16 v34, v24, s2, v54
	v_fma_f16 v24, v24, s5, v54
	v_add_f16_e32 v23, v50, v23
	v_fma_f16 v34, v13, s8, v34
	v_fma_f16 v13, v13, s3, v24
	v_fma_f16 v34, v23, s4, v34
	v_fma_f16 v23, v23, s4, v13
	v_add_f16_e32 v13, v45, v43
	v_sub_f16_e32 v24, v22, v45
	v_sub_f16_e32 v50, v59, v43
	v_fma_f16 v13, v13, -0.5, v35
	v_add_f16_e32 v24, v24, v50
	v_sub_f16_e32 v50, v46, v32
	v_fma_f16 v51, v50, s2, v13
	v_sub_f16_e32 v54, v30, v31
	v_fma_f16 v13, v50, s5, v13
	v_fma_f16 v51, v54, s3, v51
	;; [unrolled: 1-line block ×5, first 2 shown]
	v_sub_f16_e32 v13, v45, v22
	v_sub_f16_e32 v62, v43, v59
	v_add_f16_e32 v13, v13, v62
	v_add_f16_e32 v62, v22, v59
	v_fma_f16 v62, v62, -0.5, v35
	v_fma_f16 v63, v54, s5, v62
	v_fma_f16 v54, v54, s2, v62
	;; [unrolled: 1-line block ×6, first 2 shown]
	v_add_f16_e32 v13, v35, v22
	v_add_f16_e32 v13, v13, v45
	;; [unrolled: 1-line block ×4, first 2 shown]
	v_sub_f16_e32 v13, v22, v59
	v_sub_f16_e32 v22, v45, v43
	;; [unrolled: 1-line block ×4, first 2 shown]
	v_add_f16_e32 v43, v43, v45
	v_lshrrev_b32_e32 v35, 16, v35
	v_add_f16_e32 v45, v30, v31
	v_fma_f16 v45, v45, -0.5, v35
	v_fma_f16 v59, v13, s5, v45
	v_fma_f16 v45, v13, s2, v45
	v_fma_f16 v59, v22, s8, v59
	v_fma_f16 v45, v22, s3, v45
	v_fma_f16 v59, v43, s4, v59
	v_fma_f16 v43, v43, s4, v45
	v_add_f16_e32 v45, v46, v32
	v_fma_f16 v45, v45, -0.5, v35
	v_add_f16_e32 v35, v35, v46
	v_add_f16_e32 v35, v35, v30
	v_sub_f16_e32 v30, v30, v46
	v_add_f16_e32 v35, v35, v31
	v_sub_f16_e32 v31, v31, v32
	v_add_f16_e32 v30, v30, v31
	v_fma_f16 v31, v22, s2, v45
	v_fma_f16 v22, v22, s5, v45
	;; [unrolled: 1-line block ×6, first 2 shown]
	v_sub_f16_e32 v13, v42, v44
	v_sub_f16_e32 v30, v33, v27
	v_add_f16_e32 v13, v13, v30
	v_add_f16_e32 v30, v44, v27
	;; [unrolled: 1-line block ×3, first 2 shown]
	v_fma_f16 v30, v30, -0.5, v52
	v_sub_f16_e32 v32, v25, v28
	v_fma_f16 v45, v32, s2, v30
	v_sub_f16_e32 v46, v26, v58
	v_fma_f16 v30, v32, s5, v30
	v_fma_f16 v45, v46, s3, v45
	;; [unrolled: 1-line block ×5, first 2 shown]
	v_sub_f16_e32 v30, v44, v42
	v_sub_f16_e32 v63, v27, v33
	v_add_f16_e32 v30, v30, v63
	v_add_f16_e32 v63, v42, v33
	v_fma_f16 v63, v63, -0.5, v52
	v_fma_f16 v64, v46, s5, v63
	v_fma_f16 v46, v46, s2, v63
	;; [unrolled: 1-line block ×6, first 2 shown]
	v_add_f16_e32 v32, v52, v42
	v_add_f16_e32 v32, v32, v44
	;; [unrolled: 1-line block ×4, first 2 shown]
	v_sub_f16_e32 v33, v42, v33
	v_sub_f16_e32 v27, v44, v27
	;; [unrolled: 1-line block ×4, first 2 shown]
	v_add_f16_e32 v42, v42, v44
	v_lshrrev_b32_e32 v44, 16, v52
	v_add_f16_e32 v52, v26, v58
	v_fma_f16 v52, v52, -0.5, v44
	v_fma_f16 v63, v33, s5, v52
	v_fma_f16 v52, v33, s2, v52
	;; [unrolled: 1-line block ×6, first 2 shown]
	v_add_f16_e32 v52, v25, v28
	v_fma_f16 v52, v52, -0.5, v44
	v_add_f16_e32 v44, v44, v25
	v_add_f16_e32 v44, v44, v26
	v_sub_f16_e32 v25, v26, v25
	v_add_f16_e32 v26, v44, v58
	v_add_f16_e32 v26, v26, v28
	v_sub_f16_e32 v28, v58, v28
	v_add_f16_e32 v25, v25, v28
	v_fma_f16 v28, v27, s2, v52
	v_fma_f16 v27, v27, s5, v52
	;; [unrolled: 1-line block ×6, first 2 shown]
	v_add3_u32 v18, 0, v18, v56
	v_pack_b32_f16 v27, v57, v29
	v_pack_b32_f16 v29, v61, v55
	s_waitcnt lgkmcnt(0)
	; wave barrier
	ds_write2_b32 v18, v27, v29 offset1:24
	v_pack_b32_f16 v27, v60, v34
	v_pack_b32_f16 v21, v21, v23
	ds_write2_b32 v18, v27, v21 offset0:48 offset1:72
	v_pack_b32_f16 v21, v48, v53
	ds_write_b32 v18, v21 offset:384
	v_mul_u32_u24_e32 v18, 0x1e0, v20
	v_add3_u32 v18, 0, v18, v49
	v_pack_b32_f16 v20, v62, v35
	v_pack_b32_f16 v21, v51, v59
	ds_write2_b32 v18, v20, v21 offset1:24
	v_pack_b32_f16 v20, v54, v31
	v_pack_b32_f16 v21, v50, v22
	ds_write2_b32 v18, v20, v21 offset0:48 offset1:72
	v_pack_b32_f16 v20, v24, v43
	ds_write_b32 v18, v20 offset:384
	v_mul_u32_u24_e32 v18, 0x1e0, v19
	v_add3_u32 v18, 0, v18, v47
	v_pack_b32_f16 v19, v32, v26
	v_pack_b32_f16 v20, v45, v63
	ds_write2_b32 v18, v19, v20 offset1:24
	v_pack_b32_f16 v19, v46, v28
	v_pack_b32_f16 v20, v30, v25
	ds_write2_b32 v18, v19, v20 offset0:48 offset1:72
	v_pack_b32_f16 v19, v13, v42
	ds_write_b32 v18, v19 offset:384
	v_add_u32_e32 v18, 0xa0, v11
	s_waitcnt lgkmcnt(0)
	; wave barrier
	s_waitcnt lgkmcnt(0)
	ds_read2_b32 v[23:24], v11 offset1:120
	ds_read2_b32 v[28:29], v11 offset0:176 offset1:240
	ds_read2st64_b32 v[30:31], v18 offset0:4 offset1:5
	v_add_u32_e32 v18, 0x80, v11
	ds_read2st64_b32 v[32:33], v18 offset0:6 offset1:7
	v_add_u32_e32 v18, 0x60, v11
	;; [unrolled: 2-line block ×3, first 2 shown]
	ds_read2st64_b32 v[26:27], v18 offset0:10 offset1:11
	ds_read_b32 v48, v41
	ds_read_b32 v49, v11 offset:3104
	v_cmp_gt_u32_e64 s[2:3], 8, v3
                                        ; implicit-def: $vgpr43
                                        ; implicit-def: $vgpr44
                                        ; implicit-def: $vgpr20
                                        ; implicit-def: $vgpr47
                                        ; implicit-def: $vgpr22
                                        ; implicit-def: $vgpr45
                                        ; implicit-def: $vgpr46
	s_and_saveexec_b64 s[4:5], s[2:3]
	s_cbranch_execz .LBB0_25
; %bb.24:
	v_add_u32_e32 v8, 0x200, v11
	v_add_u32_e32 v19, 0x600, v11
	ds_read_b32 v13, v40
	ds_read2_b32 v[17:18], v8 offset0:104 offset1:224
	ds_read2_b32 v[19:20], v19 offset0:88 offset1:208
	v_add_u32_e32 v8, 0xa00, v11
	ds_read2_b32 v[21:22], v8 offset0:72 offset1:192
	s_waitcnt lgkmcnt(3)
	v_lshrrev_b32_e32 v42, 16, v13
	s_waitcnt lgkmcnt(2)
	v_lshrrev_b32_e32 v8, 16, v17
	v_lshrrev_b32_e32 v43, 16, v18
	s_waitcnt lgkmcnt(1)
	v_lshrrev_b32_e32 v46, 16, v19
	;; [unrolled: 3-line block ×3, first 2 shown]
	v_lshrrev_b32_e32 v47, 16, v22
.LBB0_25:
	s_or_b64 exec, exec, s[4:5]
	v_mul_u32_u24_e32 v50, 6, v3
	v_lshlrev_b32_e32 v65, 2, v50
	global_load_dwordx4 v[50:53], v65, s[12:13] offset:472
	s_waitcnt lgkmcnt(7)
	v_lshrrev_b32_e32 v64, 16, v24
	s_waitcnt lgkmcnt(6)
	v_lshrrev_b32_e32 v63, 16, v29
	;; [unrolled: 2-line block ×6, first 2 shown]
	v_lshrrev_b32_e32 v61, 16, v28
	v_lshrrev_b32_e32 v60, 16, v30
	;; [unrolled: 1-line block ×5, first 2 shown]
	s_waitcnt lgkmcnt(0)
	v_lshrrev_b32_e32 v59, 16, v49
	s_movk_i32 s14, 0x2b26
	s_mov_b32 s8, 0xbb00
	s_mov_b32 s15, 0xbcab
	s_movk_i32 s9, 0x39e0
	s_mov_b32 s18, 0xb9e0
	s_mov_b32 s19, 0xb574
	s_movk_i32 s16, 0x3574
	s_mov_b32 s17, 0xb70e
	s_waitcnt vmcnt(0)
	v_mul_f16_sdwa v66, v50, v64 dst_sel:DWORD dst_unused:UNUSED_PAD src0_sel:WORD_1 src1_sel:DWORD
	v_fma_f16 v66, v50, v24, v66
	v_mul_f16_sdwa v24, v50, v24 dst_sel:DWORD dst_unused:UNUSED_PAD src0_sel:WORD_1 src1_sel:DWORD
	v_fma_f16 v64, v50, v64, -v24
	v_mul_f16_sdwa v24, v51, v63 dst_sel:DWORD dst_unused:UNUSED_PAD src0_sel:WORD_1 src1_sel:DWORD
	v_fma_f16 v67, v51, v29, v24
	v_mul_f16_sdwa v24, v51, v29 dst_sel:DWORD dst_unused:UNUSED_PAD src0_sel:WORD_1 src1_sel:DWORD
	v_fma_f16 v29, v51, v63, -v24
	;; [unrolled: 4-line block ×4, first 2 shown]
	global_load_dwordx2 v[24:25], v65, s[12:13] offset:488
	s_waitcnt vmcnt(0)
	v_mul_f16_sdwa v50, v24, v55 dst_sel:DWORD dst_unused:UNUSED_PAD src0_sel:WORD_1 src1_sel:DWORD
	v_fma_f16 v65, v24, v35, v50
	v_mul_f16_sdwa v35, v24, v35 dst_sel:DWORD dst_unused:UNUSED_PAD src0_sel:WORD_1 src1_sel:DWORD
	v_fma_f16 v35, v24, v55, -v35
	v_mul_f16_sdwa v24, v25, v54 dst_sel:DWORD dst_unused:UNUSED_PAD src0_sel:WORD_1 src1_sel:DWORD
	v_fma_f16 v68, v25, v27, v24
	v_mul_f16_sdwa v24, v25, v27 dst_sel:DWORD dst_unused:UNUSED_PAD src0_sel:WORD_1 src1_sel:DWORD
	v_fma_f16 v69, v25, v54, -v24
	v_mul_i32_i24_e32 v24, 6, v7
	v_mov_b32_e32 v25, 0
	v_lshlrev_b64 v[50:51], 2, v[24:25]
	v_mov_b32_e32 v24, s13
	v_add_co_u32_e64 v54, s[4:5], s12, v50
	v_addc_co_u32_e64 v55, s[4:5], v24, v51, s[4:5]
	global_load_dwordx4 v[50:53], v[54:55], off offset:472
	s_waitcnt vmcnt(0)
	v_mul_f16_sdwa v24, v50, v61 dst_sel:DWORD dst_unused:UNUSED_PAD src0_sel:WORD_1 src1_sel:DWORD
	v_mul_f16_sdwa v27, v50, v28 dst_sel:DWORD dst_unused:UNUSED_PAD src0_sel:WORD_1 src1_sel:DWORD
	v_fma_f16 v24, v50, v28, v24
	v_fma_f16 v50, v50, v61, -v27
	v_mul_f16_sdwa v27, v51, v60 dst_sel:DWORD dst_unused:UNUSED_PAD src0_sel:WORD_1 src1_sel:DWORD
	v_fma_f16 v61, v51, v30, v27
	v_mul_f16_sdwa v27, v51, v30 dst_sel:DWORD dst_unused:UNUSED_PAD src0_sel:WORD_1 src1_sel:DWORD
	v_fma_f16 v30, v51, v60, -v27
	v_mul_f16_sdwa v27, v56, v52 dst_sel:DWORD dst_unused:UNUSED_PAD src0_sel:DWORD src1_sel:WORD_1
	v_fma_f16 v51, v32, v52, v27
	v_mul_f16_sdwa v27, v32, v52 dst_sel:DWORD dst_unused:UNUSED_PAD src0_sel:DWORD src1_sel:WORD_1
	v_fma_f16 v32, v56, v52, -v27
	v_mul_f16_sdwa v27, v57, v53 dst_sel:DWORD dst_unused:UNUSED_PAD src0_sel:DWORD src1_sel:WORD_1
	v_fma_f16 v52, v34, v53, v27
	v_mul_f16_sdwa v27, v34, v53 dst_sel:DWORD dst_unused:UNUSED_PAD src0_sel:DWORD src1_sel:WORD_1
	v_fma_f16 v34, v57, v53, -v27
	global_load_dwordx2 v[27:28], v[54:55], off offset:488
	v_add_f16_e32 v54, v64, v69
	v_add_f16_e32 v57, v67, v65
	v_sub_f16_e32 v55, v66, v68
	v_sub_f16_e32 v56, v64, v69
	v_add_f16_e32 v60, v31, v33
	v_sub_f16_e32 v31, v33, v31
	s_waitcnt lgkmcnt(0)
	; wave barrier
	s_waitcnt vmcnt(0)
	v_mul_f16_sdwa v53, v58, v27 dst_sel:DWORD dst_unused:UNUSED_PAD src0_sel:DWORD src1_sel:WORD_1
	v_fma_f16 v53, v26, v27, v53
	v_mul_f16_sdwa v26, v26, v27 dst_sel:DWORD dst_unused:UNUSED_PAD src0_sel:DWORD src1_sel:WORD_1
	v_fma_f16 v26, v58, v27, -v26
	v_mul_f16_sdwa v27, v59, v28 dst_sel:DWORD dst_unused:UNUSED_PAD src0_sel:DWORD src1_sel:WORD_1
	v_fma_f16 v27, v49, v28, v27
	v_mul_f16_sdwa v49, v49, v28 dst_sel:DWORD dst_unused:UNUSED_PAD src0_sel:DWORD src1_sel:WORD_1
	v_fma_f16 v28, v59, v28, -v49
	v_add_f16_e32 v49, v66, v68
	v_add_f16_e32 v58, v29, v35
	v_sub_f16_e32 v59, v67, v65
	v_sub_f16_e32 v29, v29, v35
	v_add_f16_e32 v35, v63, v62
	v_sub_f16_e32 v62, v62, v63
	v_add_f16_e32 v33, v57, v49
	v_add_f16_e32 v63, v58, v54
	v_sub_f16_e32 v64, v57, v49
	v_sub_f16_e32 v65, v58, v54
	;; [unrolled: 1-line block ×6, first 2 shown]
	v_add_f16_e32 v66, v62, v59
	v_add_f16_e32 v67, v31, v29
	v_sub_f16_e32 v68, v62, v59
	v_sub_f16_e32 v69, v31, v29
	;; [unrolled: 1-line block ×4, first 2 shown]
	v_add_f16_e32 v33, v35, v33
	v_add_f16_e32 v35, v60, v63
	v_sub_f16_e32 v62, v55, v62
	v_sub_f16_e32 v31, v56, v31
	v_add_f16_e32 v55, v66, v55
	v_add_f16_e32 v56, v67, v56
	;; [unrolled: 1-line block ×3, first 2 shown]
	v_add_f16_sdwa v23, v35, v23 dst_sel:DWORD dst_unused:UNUSED_PAD src0_sel:DWORD src1_sel:WORD_1
	v_mul_f16_e32 v49, 0x3a52, v49
	v_mul_f16_e32 v54, 0x3a52, v54
	;; [unrolled: 1-line block ×8, first 2 shown]
	v_fma_f16 v33, v33, s15, v60
	v_fma_f16 v35, v35, s15, v23
	;; [unrolled: 1-line block ×4, first 2 shown]
	v_fma_f16 v63, v64, s9, -v63
	v_fma_f16 v66, v65, s9, -v66
	;; [unrolled: 1-line block ×4, first 2 shown]
	v_fma_f16 v64, v62, s19, v67
	v_fma_f16 v65, v31, s19, v68
	v_fma_f16 v59, v59, s8, -v67
	v_fma_f16 v62, v62, s16, -v69
	;; [unrolled: 1-line block ×4, first 2 shown]
	v_add_f16_e32 v57, v57, v33
	v_add_f16_e32 v58, v58, v35
	;; [unrolled: 1-line block ×6, first 2 shown]
	v_fma_f16 v49, v55, s17, v64
	v_fma_f16 v54, v56, s17, v65
	;; [unrolled: 1-line block ×6, first 2 shown]
	v_add_f16_e32 v56, v54, v57
	v_add_f16_e32 v64, v31, v33
	v_sub_f16_e32 v65, v35, v55
	v_sub_f16_e32 v31, v33, v31
	v_add_f16_e32 v33, v55, v35
	v_sub_f16_e32 v35, v57, v54
	v_add_f16_e32 v54, v24, v27
	v_add_f16_e32 v55, v50, v28
	v_sub_f16_e32 v24, v24, v27
	v_sub_f16_e32 v27, v50, v28
	v_add_f16_e32 v28, v61, v53
	v_add_f16_e32 v50, v30, v26
	v_sub_f16_e32 v53, v61, v53
	;; [unrolled: 4-line block ×5, first 2 shown]
	v_add_f16_e32 v49, v49, v58
	v_sub_f16_e32 v58, v28, v54
	v_sub_f16_e32 v61, v50, v55
	;; [unrolled: 1-line block ×6, first 2 shown]
	v_add_f16_e32 v63, v51, v53
	v_add_f16_e32 v66, v32, v26
	v_sub_f16_e32 v69, v51, v53
	v_sub_f16_e32 v70, v32, v26
	;; [unrolled: 1-line block ×3, first 2 shown]
	v_add_f16_e32 v30, v30, v34
	v_add_f16_e32 v34, v57, v52
	v_sub_f16_e32 v51, v24, v51
	v_sub_f16_e32 v32, v27, v32
	;; [unrolled: 1-line block ×3, first 2 shown]
	v_add_f16_e32 v24, v63, v24
	v_add_f16_e32 v27, v66, v27
	;; [unrolled: 1-line block ×3, first 2 shown]
	v_add_f16_sdwa v48, v34, v48 dst_sel:DWORD dst_unused:UNUSED_PAD src0_sel:DWORD src1_sel:WORD_1
	v_mul_f16_e32 v54, 0x3a52, v54
	v_mul_f16_e32 v55, 0x3a52, v55
	v_mul_f16_e32 v57, 0x2b26, v28
	v_mul_f16_e32 v63, 0x2b26, v50
	v_mul_f16_e32 v66, 0x3846, v69
	v_mul_f16_e32 v69, 0x3846, v70
	v_mul_f16_e32 v70, 0xbb00, v53
	v_mul_f16_e32 v71, 0xbb00, v26
	v_fma_f16 v30, v30, s15, v52
	v_fma_f16 v34, v34, s15, v48
	;; [unrolled: 1-line block ×4, first 2 shown]
	v_fma_f16 v57, v58, s9, -v57
	v_fma_f16 v63, v61, s9, -v63
	;; [unrolled: 1-line block ×4, first 2 shown]
	v_fma_f16 v58, v51, s19, v66
	v_fma_f16 v53, v53, s8, -v66
	v_fma_f16 v51, v51, s16, -v70
	v_fma_f16 v61, v32, s19, v69
	v_fma_f16 v26, v26, s8, -v69
	v_fma_f16 v32, v32, s16, -v71
	v_add_f16_e32 v28, v28, v30
	v_add_f16_e32 v50, v50, v34
	;; [unrolled: 1-line block ×6, first 2 shown]
	v_fma_f16 v54, v24, s17, v58
	v_fma_f16 v53, v24, s17, v53
	;; [unrolled: 1-line block ×6, first 2 shown]
	v_sub_f16_e32 v61, v34, v24
	v_add_f16_e32 v24, v24, v34
	v_pack_b32_f16 v23, v60, v23
	v_pack_b32_f16 v34, v56, v62
	v_sub_f16_e32 v51, v50, v54
	v_add_f16_e32 v58, v27, v30
	v_sub_f16_e32 v27, v30, v27
	v_add_f16_e32 v30, v54, v50
	ds_write2_b32 v11, v23, v34 offset1:120
	v_pack_b32_f16 v23, v64, v65
	v_pack_b32_f16 v34, v67, v68
	v_add_u32_e32 v50, 0x200, v11
	ds_write2_b32 v50, v23, v34 offset0:112 offset1:232
	v_pack_b32_f16 v23, v29, v59
	v_pack_b32_f16 v29, v31, v33
	v_add_u32_e32 v31, 0x600, v11
	v_add_f16_e32 v32, v55, v28
	ds_write2_b32 v31, v23, v29 offset0:96 offset1:216
	v_pack_b32_f16 v23, v35, v49
	v_sub_f16_e32 v66, v57, v26
	v_add_f16_e32 v69, v53, v63
	ds_write_b32 v11, v23 offset:2880
	v_pack_b32_f16 v23, v52, v48
	v_pack_b32_f16 v29, v32, v51
	v_add_f16_e32 v26, v26, v57
	v_sub_f16_e32 v53, v63, v53
	ds_write2_b32 v41, v23, v29 offset1:120
	v_pack_b32_f16 v23, v58, v61
	v_pack_b32_f16 v29, v66, v69
	v_add_u32_e32 v31, 0x200, v41
	v_sub_f16_e32 v28, v28, v55
	ds_write2_b32 v31, v23, v29 offset0:112 offset1:232
	v_pack_b32_f16 v23, v26, v53
	v_pack_b32_f16 v24, v27, v24
	v_add_u32_e32 v26, 0x600, v41
	ds_write2_b32 v26, v23, v24 offset0:96 offset1:216
	v_pack_b32_f16 v23, v28, v30
	ds_write_b32 v41, v23 offset:2880
	s_and_saveexec_b64 s[4:5], s[2:3]
	s_cbranch_execz .LBB0_27
; %bb.26:
	v_add_u32_e32 v23, -8, v3
	v_cndmask_b32_e64 v23, v23, v16, s[2:3]
	v_mul_i32_i24_e32 v24, 6, v23
	v_lshlrev_b64 v[23:24], 2, v[24:25]
	v_mov_b32_e32 v25, s13
	v_add_co_u32_e64 v27, s[2:3], s12, v23
	v_addc_co_u32_e64 v28, s[2:3], v25, v24, s[2:3]
	global_load_dwordx4 v[23:26], v[27:28], off offset:472
	global_load_dwordx2 v[29:30], v[27:28], off offset:488
	s_waitcnt vmcnt(1)
	v_mul_f16_sdwa v27, v8, v23 dst_sel:DWORD dst_unused:UNUSED_PAD src0_sel:DWORD src1_sel:WORD_1
	s_waitcnt vmcnt(0)
	v_mul_f16_sdwa v28, v47, v30 dst_sel:DWORD dst_unused:UNUSED_PAD src0_sel:DWORD src1_sel:WORD_1
	v_mul_f16_sdwa v31, v44, v26 dst_sel:DWORD dst_unused:UNUSED_PAD src0_sel:DWORD src1_sel:WORD_1
	;; [unrolled: 1-line block ×11, first 2 shown]
	v_fma_f16 v17, v17, v23, v27
	v_fma_f16 v22, v22, v30, v28
	;; [unrolled: 1-line block ×6, first 2 shown]
	v_fma_f16 v27, v47, v30, -v35
	v_fma_f16 v8, v8, v23, -v48
	v_fma_f16 v23, v46, v25, -v49
	v_fma_f16 v25, v44, v26, -v50
	v_fma_f16 v26, v45, v29, -v51
	v_fma_f16 v24, v43, v24, -v52
	v_sub_f16_e32 v28, v17, v22
	v_sub_f16_e32 v30, v18, v21
	v_add_f16_e32 v31, v8, v27
	v_add_f16_e32 v33, v24, v26
	;; [unrolled: 1-line block ×4, first 2 shown]
	v_sub_f16_e32 v29, v20, v19
	v_add_f16_e32 v32, v23, v25
	v_add_f16_e32 v19, v19, v20
	v_sub_f16_e32 v8, v8, v27
	v_sub_f16_e32 v20, v25, v23
	;; [unrolled: 1-line block ×3, first 2 shown]
	v_add_f16_e32 v27, v33, v31
	v_add_f16_e32 v35, v18, v17
	v_sub_f16_e32 v22, v28, v29
	v_sub_f16_e32 v23, v29, v30
	v_add_f16_e32 v24, v29, v30
	v_sub_f16_e32 v25, v31, v32
	v_sub_f16_e32 v26, v32, v33
	;; [unrolled: 1-line block ×6, first 2 shown]
	v_add_f16_e32 v20, v20, v21
	v_sub_f16_e32 v30, v30, v28
	v_sub_f16_e32 v17, v18, v17
	v_sub_f16_e32 v18, v21, v8
	v_add_f16_e32 v27, v32, v27
	v_add_f16_e32 v19, v19, v35
	v_sub_f16_e32 v31, v33, v31
	v_mul_f16_e32 v21, 0x3846, v23
	v_add_f16_e32 v23, v24, v28
	v_mul_f16_e32 v24, 0x3a52, v25
	v_mul_f16_e32 v25, 0x2b26, v26
	;; [unrolled: 1-line block ×5, first 2 shown]
	v_add_f16_e32 v8, v20, v8
	v_mul_f16_e32 v20, 0xbb00, v30
	v_add_f16_e32 v35, v42, v27
	v_add_f16_e32 v13, v13, v19
	v_mul_f16_e32 v46, 0xbb00, v18
	v_fma_f16 v33, v22, s19, v21
	v_fma_f16 v26, v26, s14, v24
	;; [unrolled: 1-line block ×4, first 2 shown]
	v_fma_f16 v20, v22, s16, -v20
	v_fma_f16 v22, v31, s18, -v24
	;; [unrolled: 1-line block ×3, first 2 shown]
	v_fma_f16 v27, v27, s15, v35
	v_fma_f16 v19, v19, s15, v13
	v_fma_f16 v43, v43, s16, -v46
	v_fma_f16 v25, v31, s9, -v25
	;; [unrolled: 1-line block ×5, first 2 shown]
	v_fma_f16 v28, v23, s17, v33
	v_fma_f16 v33, v8, s17, v42
	;; [unrolled: 1-line block ×3, first 2 shown]
	v_add_f16_e32 v26, v26, v27
	v_add_f16_e32 v34, v34, v19
	;; [unrolled: 1-line block ×3, first 2 shown]
	v_fma_f16 v43, v8, s17, v43
	v_add_f16_e32 v25, v25, v27
	v_fma_f16 v21, v23, s17, v21
	v_fma_f16 v8, v8, s17, v18
	v_add_f16_e32 v17, v17, v19
	v_add_f16_e32 v24, v24, v19
	;; [unrolled: 1-line block ×3, first 2 shown]
	v_sub_f16_e32 v23, v25, v21
	v_add_f16_e32 v18, v8, v17
	v_add_f16_e32 v19, v21, v25
	v_sub_f16_e32 v8, v17, v8
	v_sub_f16_e32 v17, v22, v20
	;; [unrolled: 1-line block ×3, first 2 shown]
	v_add_f16_e32 v22, v33, v34
	v_add_f16_e32 v20, v43, v24
	v_pack_b32_f16 v13, v13, v35
	v_pack_b32_f16 v21, v22, v21
	v_sub_f16_e32 v46, v24, v43
	ds_write2_b32 v11, v13, v21 offset0:112 offset1:232
	v_pack_b32_f16 v13, v20, v17
	v_pack_b32_f16 v8, v8, v19
	v_add_u32_e32 v17, 0x400, v11
	v_add_f16_e32 v42, v28, v26
	v_sub_f16_e32 v44, v34, v33
	ds_write2_b32 v17, v13, v8 offset0:96 offset1:216
	v_pack_b32_f16 v8, v18, v23
	v_pack_b32_f16 v13, v46, v45
	v_add_u32_e32 v17, 0x800, v11
	ds_write2_b32 v17, v8, v13 offset0:80 offset1:200
	v_pack_b32_f16 v8, v44, v42
	ds_write_b32 v11, v8 offset:3328
.LBB0_27:
	s_or_b64 exec, exec, s[4:5]
	s_waitcnt lgkmcnt(0)
	; wave barrier
	s_waitcnt lgkmcnt(0)
	ds_read_b32 v8, v11
	v_sub_u32_e32 v18, 0, v4
	v_cmp_ne_u32_e64 s[2:3], 0, v3
                                        ; implicit-def: $vgpr13
                                        ; implicit-def: $vgpr4
                                        ; implicit-def: $vgpr19
	s_and_saveexec_b64 s[4:5], s[2:3]
	s_xor_b64 s[4:5], exec, s[4:5]
	s_cbranch_execz .LBB0_29
; %bb.28:
	v_mov_b32_e32 v4, 0
	v_lshlrev_b64 v[19:20], 2, v[3:4]
	v_mov_b32_e32 v4, s13
	v_add_co_u32_e64 v19, s[2:3], s12, v19
	v_addc_co_u32_e64 v20, s[2:3], v4, v20, s[2:3]
	global_load_dword v13, v[19:20], off offset:3352
	ds_read_b32 v4, v18 offset:3360
	s_waitcnt lgkmcnt(0)
	v_add_f16_sdwa v19, v4, v8 dst_sel:DWORD dst_unused:UNUSED_PAD src0_sel:WORD_1 src1_sel:WORD_1
	v_sub_f16_e32 v20, v8, v4
	v_add_f16_e32 v17, v4, v8
	v_sub_f16_sdwa v4, v8, v4 dst_sel:DWORD dst_unused:UNUSED_PAD src0_sel:WORD_1 src1_sel:WORD_1
	v_mul_f16_e32 v8, 0.5, v19
	v_mul_f16_e32 v20, 0.5, v20
	;; [unrolled: 1-line block ×3, first 2 shown]
	s_waitcnt vmcnt(0)
	v_lshrrev_b32_e32 v19, 16, v13
	v_mul_f16_e32 v21, v19, v20
	v_fma_f16 v22, v8, v19, v4
	v_fma_f16 v23, v8, v19, -v4
	v_fma_f16 v4, v17, 0.5, v21
	v_fma_f16 v17, v17, 0.5, -v21
	v_fma_f16 v21, v13, v8, v4
	v_fma_f16 v19, -v13, v20, v22
	v_fma_f16 v4, -v13, v8, v17
	ds_write_b16 v11, v21
	v_fma_f16 v13, -v13, v20, v23
                                        ; implicit-def: $vgpr8
.LBB0_29:
	s_andn2_saveexec_b64 s[2:3], s[4:5]
	s_cbranch_execz .LBB0_31
; %bb.30:
	v_mov_b32_e32 v19, 0
	ds_read_u16 v13, v19 offset:1682
	s_waitcnt lgkmcnt(1)
	v_add_f16_sdwa v17, v8, v8 dst_sel:DWORD dst_unused:UNUSED_PAD src0_sel:WORD_1 src1_sel:DWORD
	v_sub_f16_sdwa v4, v8, v8 dst_sel:DWORD dst_unused:UNUSED_PAD src0_sel:DWORD src1_sel:WORD_1
	ds_write_b16 v11, v17
	s_waitcnt lgkmcnt(1)
	v_xor_b32_e32 v8, 0x8000, v13
	v_mov_b32_e32 v13, 0
	ds_write_b16 v19, v8 offset:1682
.LBB0_31:
	s_or_b64 exec, exec, s[2:3]
	s_waitcnt lgkmcnt(0)
	v_mov_b32_e32 v8, 0
	v_lshlrev_b64 v[20:21], 2, v[7:8]
	v_mov_b32_e32 v7, s13
	v_add_co_u32_e64 v20, s[2:3], s12, v20
	v_addc_co_u32_e64 v21, s[2:3], v7, v21, s[2:3]
	global_load_dword v20, v[20:21], off offset:3352
	v_mov_b32_e32 v17, v8
	v_lshlrev_b64 v[16:17], 2, v[16:17]
	ds_write_b16 v11, v19 offset:2
	v_add_co_u32_e64 v16, s[2:3], s12, v16
	v_addc_co_u32_e64 v17, s[2:3], v7, v17, s[2:3]
	global_load_dword v17, v[16:17], off offset:3352
	v_mov_b32_e32 v16, v8
	v_lshlrev_b64 v[15:16], 2, v[15:16]
	v_mov_b32_e32 v11, v8
	v_add_co_u32_e64 v15, s[2:3], s12, v15
	v_addc_co_u32_e64 v16, s[2:3], v7, v16, s[2:3]
	global_load_dword v16, v[15:16], off offset:3352
	s_mov_b32 s5, 0x5040100
	v_lshlrev_b64 v[10:11], 2, v[10:11]
	v_perm_b32 v4, v13, v4, s5
	v_mov_b32_e32 v13, v8
	v_lshlrev_b64 v[12:13], 2, v[12:13]
	v_add_co_u32_e64 v10, s[2:3], s12, v10
	v_mov_b32_e32 v15, v8
	v_addc_co_u32_e64 v11, s[2:3], v7, v11, s[2:3]
	v_lshlrev_b64 v[14:15], 2, v[14:15]
	v_add_co_u32_e64 v12, s[2:3], s12, v12
	v_addc_co_u32_e64 v13, s[2:3], v7, v13, s[2:3]
	ds_write_b32 v18, v4 offset:3360
	v_add_co_u32_e64 v14, s[2:3], s12, v14
	ds_read_b32 v4, v41
	ds_read_b32 v19, v18 offset:3136
	v_addc_co_u32_e64 v15, s[2:3], v7, v15, s[2:3]
	global_load_dword v7, v[10:11], off offset:3352
	global_load_dword v21, v[12:13], off offset:3352
	;; [unrolled: 1-line block ×3, first 2 shown]
	s_mov_b32 s4, 0xffff
	s_waitcnt lgkmcnt(0)
	v_pk_add_f16 v10, v4, v19 neg_lo:[0,1] neg_hi:[0,1]
	v_pk_add_f16 v4, v4, v19
	v_bfi_b32 v11, s4, v10, v4
	v_bfi_b32 v4, s4, v4, v10
	v_pk_mul_f16 v10, v11, 0.5 op_sel_hi:[1,0]
	v_pk_mul_f16 v4, v4, 0.5 op_sel_hi:[1,0]
	s_waitcnt vmcnt(5)
	v_pk_fma_f16 v11, v20, v10, v4 op_sel:[1,0,0]
	v_pk_mul_f16 v12, v20, v10 op_sel_hi:[0,1]
	v_pk_fma_f16 v13, v20, v10, v4 op_sel:[1,0,0] neg_lo:[1,0,0] neg_hi:[1,0,0]
	v_pk_fma_f16 v4, v20, v10, v4 op_sel:[1,0,0] neg_lo:[0,0,1] neg_hi:[0,0,1]
	v_pk_add_f16 v10, v11, v12 op_sel:[0,1] op_sel_hi:[1,0]
	v_pk_add_f16 v11, v11, v12 op_sel:[0,1] op_sel_hi:[1,0] neg_lo:[0,1] neg_hi:[0,1]
	v_pk_add_f16 v13, v13, v12 op_sel:[0,1] op_sel_hi:[1,0] neg_lo:[0,1] neg_hi:[0,1]
	v_pk_add_f16 v4, v4, v12 op_sel:[0,1] op_sel_hi:[1,0] neg_lo:[0,1] neg_hi:[0,1]
	v_bfi_b32 v10, s4, v10, v11
	v_bfi_b32 v4, s4, v13, v4
	ds_write_b32 v41, v10
	ds_write_b32 v18, v4 offset:3136
	ds_read_b32 v4, v40
	ds_read_b32 v10, v18 offset:2912
	s_waitcnt lgkmcnt(0)
	v_pk_add_f16 v11, v4, v10 neg_lo:[0,1] neg_hi:[0,1]
	v_pk_add_f16 v4, v4, v10
	v_bfi_b32 v10, s4, v11, v4
	v_bfi_b32 v4, s4, v4, v11
	v_pk_mul_f16 v10, v10, 0.5 op_sel_hi:[1,0]
	v_pk_mul_f16 v4, v4, 0.5 op_sel_hi:[1,0]
	s_waitcnt vmcnt(4)
	v_pk_fma_f16 v11, v17, v10, v4 op_sel:[1,0,0]
	v_pk_mul_f16 v12, v17, v10 op_sel_hi:[0,1]
	v_pk_fma_f16 v13, v17, v10, v4 op_sel:[1,0,0] neg_lo:[1,0,0] neg_hi:[1,0,0]
	v_pk_fma_f16 v4, v17, v10, v4 op_sel:[1,0,0] neg_lo:[0,0,1] neg_hi:[0,0,1]
	v_pk_add_f16 v10, v11, v12 op_sel:[0,1] op_sel_hi:[1,0]
	v_pk_add_f16 v11, v11, v12 op_sel:[0,1] op_sel_hi:[1,0] neg_lo:[0,1] neg_hi:[0,1]
	v_pk_add_f16 v13, v13, v12 op_sel:[0,1] op_sel_hi:[1,0] neg_lo:[0,1] neg_hi:[0,1]
	v_pk_add_f16 v4, v4, v12 op_sel:[0,1] op_sel_hi:[1,0] neg_lo:[0,1] neg_hi:[0,1]
	v_bfi_b32 v10, s4, v10, v11
	v_bfi_b32 v4, s4, v13, v4
	ds_write_b32 v40, v10
	ds_write_b32 v18, v4 offset:2912
	ds_read_b32 v4, v39
	ds_read_b32 v10, v18 offset:2688
	s_waitcnt lgkmcnt(0)
	v_pk_add_f16 v11, v4, v10 neg_lo:[0,1] neg_hi:[0,1]
	v_pk_add_f16 v4, v4, v10
	v_bfi_b32 v10, s4, v11, v4
	v_bfi_b32 v4, s4, v4, v11
	v_pk_mul_f16 v10, v10, 0.5 op_sel_hi:[1,0]
	v_pk_mul_f16 v4, v4, 0.5 op_sel_hi:[1,0]
	s_waitcnt vmcnt(3)
	v_pk_fma_f16 v11, v16, v10, v4 op_sel:[1,0,0]
	v_pk_mul_f16 v12, v16, v10 op_sel_hi:[0,1]
	v_pk_fma_f16 v13, v16, v10, v4 op_sel:[1,0,0] neg_lo:[1,0,0] neg_hi:[1,0,0]
	v_pk_fma_f16 v4, v16, v10, v4 op_sel:[1,0,0] neg_lo:[0,0,1] neg_hi:[0,0,1]
	v_pk_add_f16 v10, v11, v12 op_sel:[0,1] op_sel_hi:[1,0]
	v_pk_add_f16 v11, v11, v12 op_sel:[0,1] op_sel_hi:[1,0] neg_lo:[0,1] neg_hi:[0,1]
	v_pk_add_f16 v13, v13, v12 op_sel:[0,1] op_sel_hi:[1,0] neg_lo:[0,1] neg_hi:[0,1]
	v_pk_add_f16 v4, v4, v12 op_sel:[0,1] op_sel_hi:[1,0] neg_lo:[0,1] neg_hi:[0,1]
	v_bfi_b32 v10, s4, v10, v11
	v_bfi_b32 v4, s4, v13, v4
	ds_write_b32 v39, v10
	ds_write_b32 v18, v4 offset:2688
	ds_read_b32 v4, v38
	ds_read_b32 v10, v18 offset:2464
	s_waitcnt lgkmcnt(0)
	v_pk_add_f16 v11, v4, v10 neg_lo:[0,1] neg_hi:[0,1]
	v_pk_add_f16 v4, v4, v10
	v_bfi_b32 v10, s4, v11, v4
	v_bfi_b32 v4, s4, v4, v11
	v_pk_mul_f16 v10, v10, 0.5 op_sel_hi:[1,0]
	v_pk_mul_f16 v4, v4, 0.5 op_sel_hi:[1,0]
	s_waitcnt vmcnt(2)
	v_pk_fma_f16 v11, v7, v10, v4 op_sel:[1,0,0]
	v_pk_mul_f16 v12, v7, v10 op_sel_hi:[0,1]
	v_pk_fma_f16 v13, v7, v10, v4 op_sel:[1,0,0] neg_lo:[1,0,0] neg_hi:[1,0,0]
	v_pk_fma_f16 v4, v7, v10, v4 op_sel:[1,0,0] neg_lo:[0,0,1] neg_hi:[0,0,1]
	v_pk_add_f16 v14, v11, v12 op_sel:[0,1] op_sel_hi:[1,0]
	v_pk_add_f16 v11, v11, v12 op_sel:[0,1] op_sel_hi:[1,0] neg_lo:[0,1] neg_hi:[0,1]
	v_pk_add_f16 v13, v13, v12 op_sel:[0,1] op_sel_hi:[1,0] neg_lo:[0,1] neg_hi:[0,1]
	v_pk_add_f16 v4, v4, v12 op_sel:[0,1] op_sel_hi:[1,0] neg_lo:[0,1] neg_hi:[0,1]
	v_bfi_b32 v11, s4, v14, v11
	v_bfi_b32 v4, s4, v13, v4
	ds_write_b32 v38, v11
	ds_write_b32 v18, v4 offset:2464
	ds_read_b32 v4, v37
	ds_read_b32 v7, v18 offset:2240
	s_waitcnt lgkmcnt(0)
	v_pk_add_f16 v10, v4, v7 neg_lo:[0,1] neg_hi:[0,1]
	v_pk_add_f16 v4, v4, v7
	v_bfi_b32 v7, s4, v10, v4
	v_bfi_b32 v4, s4, v4, v10
	v_pk_mul_f16 v7, v7, 0.5 op_sel_hi:[1,0]
	v_pk_mul_f16 v4, v4, 0.5 op_sel_hi:[1,0]
	s_waitcnt vmcnt(1)
	v_pk_fma_f16 v10, v21, v7, v4 op_sel:[1,0,0]
	v_pk_mul_f16 v11, v21, v7 op_sel_hi:[0,1]
	v_pk_add_f16 v12, v10, v11 op_sel:[0,1] op_sel_hi:[1,0]
	v_pk_add_f16 v10, v10, v11 op_sel:[0,1] op_sel_hi:[1,0] neg_lo:[0,1] neg_hi:[0,1]
	v_bfi_b32 v10, s4, v12, v10
	ds_write_b32 v37, v10
	v_pk_fma_f16 v10, v21, v7, v4 op_sel:[1,0,0] neg_lo:[1,0,0] neg_hi:[1,0,0]
	v_pk_fma_f16 v4, v21, v7, v4 op_sel:[1,0,0] neg_lo:[0,0,1] neg_hi:[0,0,1]
	v_pk_add_f16 v10, v10, v11 op_sel:[0,1] op_sel_hi:[1,0] neg_lo:[0,1] neg_hi:[0,1]
	v_pk_add_f16 v4, v4, v11 op_sel:[0,1] op_sel_hi:[1,0] neg_lo:[0,1] neg_hi:[0,1]
	v_bfi_b32 v4, s4, v10, v4
	ds_write_b32 v18, v4 offset:2240
	ds_read_b32 v4, v36
	ds_read_b32 v7, v18 offset:2016
	s_waitcnt lgkmcnt(0)
	v_pk_add_f16 v10, v4, v7 neg_lo:[0,1] neg_hi:[0,1]
	v_pk_add_f16 v4, v4, v7
	v_bfi_b32 v7, s4, v10, v4
	v_bfi_b32 v4, s4, v4, v10
	v_pk_mul_f16 v7, v7, 0.5 op_sel_hi:[1,0]
	v_pk_mul_f16 v4, v4, 0.5 op_sel_hi:[1,0]
	s_waitcnt vmcnt(0)
	v_pk_fma_f16 v10, v22, v7, v4 op_sel:[1,0,0]
	v_pk_mul_f16 v11, v22, v7 op_sel_hi:[0,1]
	v_pk_add_f16 v12, v10, v11 op_sel:[0,1] op_sel_hi:[1,0]
	v_pk_add_f16 v10, v10, v11 op_sel:[0,1] op_sel_hi:[1,0] neg_lo:[0,1] neg_hi:[0,1]
	v_bfi_b32 v10, s4, v12, v10
	ds_write_b32 v36, v10
	v_pk_fma_f16 v10, v22, v7, v4 op_sel:[1,0,0] neg_lo:[1,0,0] neg_hi:[1,0,0]
	v_pk_fma_f16 v4, v22, v7, v4 op_sel:[1,0,0] neg_lo:[0,0,1] neg_hi:[0,0,1]
	v_pk_add_f16 v10, v10, v11 op_sel:[0,1] op_sel_hi:[1,0] neg_lo:[0,1] neg_hi:[0,1]
	v_pk_add_f16 v4, v4, v11 op_sel:[0,1] op_sel_hi:[1,0] neg_lo:[0,1] neg_hi:[0,1]
	v_bfi_b32 v4, s4, v10, v4
	ds_write_b32 v18, v4 offset:2016
	s_and_saveexec_b64 s[2:3], s[0:1]
	s_cbranch_execz .LBB0_33
; %bb.32:
	v_mov_b32_e32 v10, v8
	v_lshlrev_b64 v[7:8], 2, v[9:10]
	v_mov_b32_e32 v4, s13
	v_add_co_u32_e64 v7, s[0:1], s12, v7
	v_addc_co_u32_e64 v8, s[0:1], v4, v8, s[0:1]
	global_load_dword v4, v[7:8], off offset:3352
	ds_read_b32 v7, v0
	ds_read_b32 v8, v18 offset:1792
	s_waitcnt lgkmcnt(0)
	v_pk_add_f16 v9, v7, v8 neg_lo:[0,1] neg_hi:[0,1]
	v_pk_add_f16 v7, v7, v8
	v_bfi_b32 v8, s4, v9, v7
	v_bfi_b32 v7, s4, v7, v9
	v_pk_mul_f16 v8, v8, 0.5 op_sel_hi:[1,0]
	v_pk_mul_f16 v7, v7, 0.5 op_sel_hi:[1,0]
	s_waitcnt vmcnt(0)
	v_pk_fma_f16 v9, v4, v8, v7 op_sel:[1,0,0]
	v_pk_mul_f16 v10, v4, v8 op_sel_hi:[0,1]
	v_pk_fma_f16 v11, v4, v8, v7 op_sel:[1,0,0] neg_lo:[1,0,0] neg_hi:[1,0,0]
	v_pk_fma_f16 v4, v4, v8, v7 op_sel:[1,0,0] neg_lo:[0,0,1] neg_hi:[0,0,1]
	v_pk_add_f16 v7, v9, v10 op_sel:[0,1] op_sel_hi:[1,0]
	v_pk_add_f16 v8, v9, v10 op_sel:[0,1] op_sel_hi:[1,0] neg_lo:[0,1] neg_hi:[0,1]
	v_pk_add_f16 v9, v11, v10 op_sel:[0,1] op_sel_hi:[1,0] neg_lo:[0,1] neg_hi:[0,1]
	;; [unrolled: 1-line block ×3, first 2 shown]
	v_bfi_b32 v7, s4, v7, v8
	v_bfi_b32 v4, s4, v9, v4
	ds_write_b32 v0, v7
	ds_write_b32 v18, v4 offset:1792
.LBB0_33:
	s_or_b64 exec, exec, s[2:3]
	s_waitcnt lgkmcnt(0)
	; wave barrier
	s_waitcnt lgkmcnt(0)
	s_and_saveexec_b64 s[0:1], vcc
	s_cbranch_execz .LBB0_36
; %bb.34:
	v_mul_lo_u32 v0, s7, v5
	v_mul_lo_u32 v4, s6, v6
	v_mad_u64_u32 v[5:6], s[0:1], s6, v5, 0
	v_lshl_add_u32 v9, v3, 2, 0
	ds_read2_b32 v[7:8], v9 offset1:56
	v_add3_u32 v6, v6, v4, v0
	v_lshlrev_b64 v[5:6], 2, v[5:6]
	v_mov_b32_e32 v0, s11
	v_add_co_u32_e32 v5, vcc, s10, v5
	v_addc_co_u32_e32 v6, vcc, v0, v6, vcc
	v_lshlrev_b64 v[0:1], 2, v[1:2]
	v_mov_b32_e32 v4, 0
	v_add_co_u32_e32 v0, vcc, v5, v0
	v_addc_co_u32_e32 v1, vcc, v6, v1, vcc
	v_lshlrev_b64 v[5:6], 2, v[3:4]
	v_add_u32_e32 v2, 0x200, v9
	v_add_co_u32_e32 v5, vcc, v0, v5
	v_addc_co_u32_e32 v6, vcc, v1, v6, vcc
	s_waitcnt lgkmcnt(0)
	global_store_dword v[5:6], v7, off
	v_add_u32_e32 v5, 56, v3
	v_mov_b32_e32 v6, v4
	v_lshlrev_b64 v[5:6], 2, v[5:6]
	v_add_co_u32_e32 v5, vcc, v0, v5
	v_addc_co_u32_e32 v6, vcc, v1, v6, vcc
	global_store_dword v[5:6], v8, off
	v_add_u32_e32 v5, 0x70, v3
	v_mov_b32_e32 v6, v4
	ds_read2_b32 v[7:8], v9 offset0:112 offset1:168
	v_lshlrev_b64 v[5:6], 2, v[5:6]
	v_add_co_u32_e32 v5, vcc, v0, v5
	v_addc_co_u32_e32 v6, vcc, v1, v6, vcc
	s_waitcnt lgkmcnt(0)
	global_store_dword v[5:6], v7, off
	v_add_u32_e32 v5, 0xa8, v3
	v_mov_b32_e32 v6, v4
	v_lshlrev_b64 v[5:6], 2, v[5:6]
	v_add_co_u32_e32 v5, vcc, v0, v5
	v_addc_co_u32_e32 v6, vcc, v1, v6, vcc
	global_store_dword v[5:6], v8, off
	v_add_u32_e32 v5, 0xe0, v3
	v_mov_b32_e32 v6, v4
	ds_read2_b32 v[7:8], v2 offset0:96 offset1:152
	v_lshlrev_b64 v[5:6], 2, v[5:6]
	v_add_u32_e32 v2, 0x400, v9
	v_add_co_u32_e32 v5, vcc, v0, v5
	v_addc_co_u32_e32 v6, vcc, v1, v6, vcc
	s_waitcnt lgkmcnt(0)
	global_store_dword v[5:6], v7, off
	v_add_u32_e32 v5, 0x118, v3
	v_mov_b32_e32 v6, v4
	v_lshlrev_b64 v[5:6], 2, v[5:6]
	v_add_co_u32_e32 v5, vcc, v0, v5
	v_addc_co_u32_e32 v6, vcc, v1, v6, vcc
	global_store_dword v[5:6], v8, off
	v_add_u32_e32 v5, 0x150, v3
	v_mov_b32_e32 v6, v4
	ds_read2_b32 v[7:8], v2 offset0:80 offset1:136
	v_lshlrev_b64 v[5:6], 2, v[5:6]
	v_add_co_u32_e32 v5, vcc, v0, v5
	v_addc_co_u32_e32 v6, vcc, v1, v6, vcc
	s_waitcnt lgkmcnt(0)
	global_store_dword v[5:6], v7, off
	v_add_u32_e32 v5, 0x188, v3
	v_mov_b32_e32 v6, v4
	v_lshlrev_b64 v[5:6], 2, v[5:6]
	v_add_co_u32_e32 v5, vcc, v0, v5
	v_addc_co_u32_e32 v6, vcc, v1, v6, vcc
	global_store_dword v[5:6], v8, off
	v_add_u32_e32 v5, 0x1c0, v3
	v_mov_b32_e32 v6, v4
	ds_read2_b32 v[7:8], v2 offset0:192 offset1:248
	;; [unrolled: 29-line block ×3, first 2 shown]
	v_lshlrev_b64 v[5:6], 2, v[5:6]
	ds_read_b32 v2, v9 offset:3136
	v_add_co_u32_e32 v5, vcc, v0, v5
	v_addc_co_u32_e32 v6, vcc, v1, v6, vcc
	s_waitcnt lgkmcnt(1)
	global_store_dword v[5:6], v7, off
	v_add_u32_e32 v5, 0x2d8, v3
	v_mov_b32_e32 v6, v4
	v_lshlrev_b64 v[5:6], 2, v[5:6]
	v_add_co_u32_e32 v5, vcc, v0, v5
	v_addc_co_u32_e32 v6, vcc, v1, v6, vcc
	global_store_dword v[5:6], v8, off
	v_add_u32_e32 v5, 0x310, v3
	v_mov_b32_e32 v6, v4
	v_lshlrev_b64 v[5:6], 2, v[5:6]
	v_add_co_u32_e32 v5, vcc, v0, v5
	v_addc_co_u32_e32 v6, vcc, v1, v6, vcc
	v_cmp_eq_u32_e32 vcc, 55, v3
	s_waitcnt lgkmcnt(0)
	global_store_dword v[5:6], v2, off
	s_and_b64 exec, exec, vcc
	s_cbranch_execz .LBB0_36
; %bb.35:
	ds_read_b32 v2, v4 offset:3360
	s_waitcnt lgkmcnt(0)
	global_store_dword v[0:1], v2, off offset:3360
.LBB0_36:
	s_endpgm
	.section	.rodata,"a",@progbits
	.p2align	6, 0x0
	.amdhsa_kernel fft_rtc_back_len840_factors_2_2_2_3_5_7_wgs_56_tpt_56_halfLds_half_op_CI_CI_unitstride_sbrr_R2C_dirReg
		.amdhsa_group_segment_fixed_size 0
		.amdhsa_private_segment_fixed_size 0
		.amdhsa_kernarg_size 104
		.amdhsa_user_sgpr_count 6
		.amdhsa_user_sgpr_private_segment_buffer 1
		.amdhsa_user_sgpr_dispatch_ptr 0
		.amdhsa_user_sgpr_queue_ptr 0
		.amdhsa_user_sgpr_kernarg_segment_ptr 1
		.amdhsa_user_sgpr_dispatch_id 0
		.amdhsa_user_sgpr_flat_scratch_init 0
		.amdhsa_user_sgpr_private_segment_size 0
		.amdhsa_uses_dynamic_stack 0
		.amdhsa_system_sgpr_private_segment_wavefront_offset 0
		.amdhsa_system_sgpr_workgroup_id_x 1
		.amdhsa_system_sgpr_workgroup_id_y 0
		.amdhsa_system_sgpr_workgroup_id_z 0
		.amdhsa_system_sgpr_workgroup_info 0
		.amdhsa_system_vgpr_workitem_id 0
		.amdhsa_next_free_vgpr 78
		.amdhsa_next_free_sgpr 28
		.amdhsa_reserve_vcc 1
		.amdhsa_reserve_flat_scratch 0
		.amdhsa_float_round_mode_32 0
		.amdhsa_float_round_mode_16_64 0
		.amdhsa_float_denorm_mode_32 3
		.amdhsa_float_denorm_mode_16_64 3
		.amdhsa_dx10_clamp 1
		.amdhsa_ieee_mode 1
		.amdhsa_fp16_overflow 0
		.amdhsa_exception_fp_ieee_invalid_op 0
		.amdhsa_exception_fp_denorm_src 0
		.amdhsa_exception_fp_ieee_div_zero 0
		.amdhsa_exception_fp_ieee_overflow 0
		.amdhsa_exception_fp_ieee_underflow 0
		.amdhsa_exception_fp_ieee_inexact 0
		.amdhsa_exception_int_div_zero 0
	.end_amdhsa_kernel
	.text
.Lfunc_end0:
	.size	fft_rtc_back_len840_factors_2_2_2_3_5_7_wgs_56_tpt_56_halfLds_half_op_CI_CI_unitstride_sbrr_R2C_dirReg, .Lfunc_end0-fft_rtc_back_len840_factors_2_2_2_3_5_7_wgs_56_tpt_56_halfLds_half_op_CI_CI_unitstride_sbrr_R2C_dirReg
                                        ; -- End function
	.section	.AMDGPU.csdata,"",@progbits
; Kernel info:
; codeLenInByte = 12368
; NumSgprs: 32
; NumVgprs: 78
; ScratchSize: 0
; MemoryBound: 0
; FloatMode: 240
; IeeeMode: 1
; LDSByteSize: 0 bytes/workgroup (compile time only)
; SGPRBlocks: 3
; VGPRBlocks: 19
; NumSGPRsForWavesPerEU: 32
; NumVGPRsForWavesPerEU: 78
; Occupancy: 3
; WaveLimiterHint : 1
; COMPUTE_PGM_RSRC2:SCRATCH_EN: 0
; COMPUTE_PGM_RSRC2:USER_SGPR: 6
; COMPUTE_PGM_RSRC2:TRAP_HANDLER: 0
; COMPUTE_PGM_RSRC2:TGID_X_EN: 1
; COMPUTE_PGM_RSRC2:TGID_Y_EN: 0
; COMPUTE_PGM_RSRC2:TGID_Z_EN: 0
; COMPUTE_PGM_RSRC2:TIDIG_COMP_CNT: 0
	.type	__hip_cuid_3338120b2d777092,@object ; @__hip_cuid_3338120b2d777092
	.section	.bss,"aw",@nobits
	.globl	__hip_cuid_3338120b2d777092
__hip_cuid_3338120b2d777092:
	.byte	0                               ; 0x0
	.size	__hip_cuid_3338120b2d777092, 1

	.ident	"AMD clang version 19.0.0git (https://github.com/RadeonOpenCompute/llvm-project roc-6.4.0 25133 c7fe45cf4b819c5991fe208aaa96edf142730f1d)"
	.section	".note.GNU-stack","",@progbits
	.addrsig
	.addrsig_sym __hip_cuid_3338120b2d777092
	.amdgpu_metadata
---
amdhsa.kernels:
  - .args:
      - .actual_access:  read_only
        .address_space:  global
        .offset:         0
        .size:           8
        .value_kind:     global_buffer
      - .offset:         8
        .size:           8
        .value_kind:     by_value
      - .actual_access:  read_only
        .address_space:  global
        .offset:         16
        .size:           8
        .value_kind:     global_buffer
      - .actual_access:  read_only
        .address_space:  global
        .offset:         24
        .size:           8
        .value_kind:     global_buffer
      - .actual_access:  read_only
        .address_space:  global
        .offset:         32
        .size:           8
        .value_kind:     global_buffer
      - .offset:         40
        .size:           8
        .value_kind:     by_value
      - .actual_access:  read_only
        .address_space:  global
        .offset:         48
        .size:           8
        .value_kind:     global_buffer
      - .actual_access:  read_only
        .address_space:  global
        .offset:         56
        .size:           8
        .value_kind:     global_buffer
      - .offset:         64
        .size:           4
        .value_kind:     by_value
      - .actual_access:  read_only
        .address_space:  global
        .offset:         72
        .size:           8
        .value_kind:     global_buffer
      - .actual_access:  read_only
        .address_space:  global
        .offset:         80
        .size:           8
        .value_kind:     global_buffer
      - .actual_access:  read_only
        .address_space:  global
        .offset:         88
        .size:           8
        .value_kind:     global_buffer
      - .actual_access:  write_only
        .address_space:  global
        .offset:         96
        .size:           8
        .value_kind:     global_buffer
    .group_segment_fixed_size: 0
    .kernarg_segment_align: 8
    .kernarg_segment_size: 104
    .language:       OpenCL C
    .language_version:
      - 2
      - 0
    .max_flat_workgroup_size: 56
    .name:           fft_rtc_back_len840_factors_2_2_2_3_5_7_wgs_56_tpt_56_halfLds_half_op_CI_CI_unitstride_sbrr_R2C_dirReg
    .private_segment_fixed_size: 0
    .sgpr_count:     32
    .sgpr_spill_count: 0
    .symbol:         fft_rtc_back_len840_factors_2_2_2_3_5_7_wgs_56_tpt_56_halfLds_half_op_CI_CI_unitstride_sbrr_R2C_dirReg.kd
    .uniform_work_group_size: 1
    .uses_dynamic_stack: false
    .vgpr_count:     78
    .vgpr_spill_count: 0
    .wavefront_size: 64
amdhsa.target:   amdgcn-amd-amdhsa--gfx906
amdhsa.version:
  - 1
  - 2
...

	.end_amdgpu_metadata
